;; amdgpu-corpus repo=ROCm/aiter kind=harvested arch=n/a opt=n/a

/root/src/amdgpu-assembly/repos/ROCm__aiter/hsa/gfx950/fmha_v3_bwd/bwd_hd192_bf16_a32_rtz_psskddv.co:	file format elf64-amdgpu

Disassembly of section .text:

0000000000004000 <_ZN5aiter45fmha_bwd_hd192_bf16_a32_rtz_psskddv_recompileE>:
	s_and_b32 s1, s1, 0xffff                                   // 000000004000: 8601FF01 0000FFFF
	s_load_dwordx2 s[32:33], s[0:1], 0x0                       // 000000004008: C0060800 00000000
	s_load_dwordx2 s[36:37], s[0:1], 0x10                      // 000000004010: C0060900 00000010
	s_load_dwordx2 s[40:41], s[0:1], 0x20                      // 000000004018: C0060A00 00000020
	s_load_dwordx2 s[8:9], s[0:1], 0x30                        // 000000004020: C0060200 00000030
	s_load_dwordx2 s[12:13], s[0:1], 0x40                      // 000000004028: C0060300 00000040
	s_load_dwordx2 s[16:17], s[0:1], 0x50                      // 000000004030: C0060400 00000050
	s_load_dwordx2 s[20:21], s[0:1], 0x60                      // 000000004038: C0060500 00000060
	s_load_dwordx2 s[24:25], s[0:1], 0x70                      // 000000004040: C0060600 00000070
	s_load_dwordx2 s[28:29], s[0:1], 0x80                      // 000000004048: C0060700 00000080
	s_load_dword s47, s[0:1], 0x90                             // 000000004050: C0020BC0 00000090
	s_load_dword s48, s[0:1], 0xa0                             // 000000004058: C0020C00 000000A0
	s_load_dword s49, s[0:1], 0xb0                             // 000000004060: C0020C40 000000B0
	s_load_dword s74, s[0:1], 0xd0                             // 000000004068: C0021280 000000D0
	s_load_dword s75, s[0:1], 0xe0                             // 000000004070: C00212C0 000000E0
	s_load_dword s5, s[0:1], 0xf0                              // 000000004078: C0020140 000000F0
	s_load_dword s44, s[0:1], 0x100                            // 000000004080: C0020B00 00000100
	s_load_dword s76, s[0:1], 0x110                            // 000000004088: C0021300 00000110
	s_load_dword s77, s[0:1], 0x120                            // 000000004090: C0021340 00000120
	s_load_dword s6, s[0:1], 0x130                             // 000000004098: C0020180 00000130
	s_load_dword s52, s[0:1], 0x140                            // 0000000040A0: C0020D00 00000140
	s_load_dword s50, s[0:1], 0x150                            // 0000000040A8: C0020C80 00000150
	s_load_dword s96, s[0:1], 0x160                            // 0000000040B0: C0021800 00000160
	s_load_dword s98, s[0:1], 0x180                            // 0000000040B8: C0021880 00000180
	s_load_dword s86, s[0:1], 0x190                            // 0000000040C0: C0021580 00000190
	s_load_dword s87, s[0:1], 0x1a0                            // 0000000040C8: C00215C0 000001A0
	s_load_dword s7, s[0:1], 0x1b0                             // 0000000040D0: C00201C0 000001B0
	s_load_dword s88, s[0:1], 0x1c0                            // 0000000040D8: C0021600 000001C0
	s_load_dword s89, s[0:1], 0x1d0                            // 0000000040E0: C0021640 000001D0
	s_load_dword s51, s[0:1], 0x1e0                            // 0000000040E8: C0020CC0 000001E0
	s_load_dword s90, s[0:1], 0x1f0                            // 0000000040F0: C0021680 000001F0
	s_load_dword s91, s[0:1], 0x200                            // 0000000040F8: C00216C0 00000200
	s_load_dword s92, s[0:1], 0x210                            // 000000004100: C0021700 00000210
	s_load_dword s93, s[0:1], 0x220                            // 000000004108: C0021740 00000220
	s_load_dword s53, s[0:1], 0x230                            // 000000004110: C0020D40 00000230
	v_lshrrev_b32_e32 v1, 10, v0                               // 000000004118: 2002008A
	v_lshrrev_b32_e32 v2, 10, v1                               // 00000000411C: 2004028A
	v_and_b32_e32 v2, 0x3ff, v2                                // 000000004120: 260404FF 000003FF
	v_and_b32_e32 v1, 0x3ff, v1                                // 000000004128: 260202FF 000003FF
	v_and_b32_e32 v0, 0x3ff, v0                                // 000000004130: 260000FF 000003FF
	v_lshrrev_b32_e32 v3, 6, v0                                // 000000004138: 20060086
	v_and_b32_e32 v0, 63, v0                                   // 00000000413C: 260000BF
	s_mov_b32 s2, s2                                           // 000000004140: BE820002
	s_mov_b32 s3, s3                                           // 000000004144: BE830003
	s_mov_b32 s4, s4                                           // 000000004148: BE840004
	v_readfirstlane_b32 s46, v3                                // 00000000414C: 7E5C0503
	s_waitcnt lgkmcnt(0)                                       // 000000004150: BF8CC07F
	s_mov_b32 s11, 0x20000                                     // 000000004154: BE8B00FF 00020000
	s_mov_b32 s15, 0x20000                                     // 00000000415C: BE8F00FF 00020000
	s_mov_b32 s19, 0x20000                                     // 000000004164: BE9300FF 00020000
	s_mov_b32 s23, 0x20000                                     // 00000000416C: BE9700FF 00020000
	s_mov_b32 s27, 0x20000                                     // 000000004174: BE9B00FF 00020000
	s_mov_b32 s31, 0x20000                                     // 00000000417C: BE9F00FF 00020000
	s_mov_b32 s35, 0x20000                                     // 000000004184: BEA300FF 00020000
	s_mov_b32 s39, 0x20000                                     // 00000000418C: BEA700FF 00020000
	s_mov_b32 s43, 0x20000                                     // 000000004194: BEAB00FF 00020000
	s_and_b32 s9, s9, 0xffff                                   // 00000000419C: 8609FF09 0000FFFF
	s_and_b32 s13, s13, 0xffff                                 // 0000000041A4: 860DFF0D 0000FFFF
	s_and_b32 s17, s17, 0xffff                                 // 0000000041AC: 8611FF11 0000FFFF
	s_and_b32 s21, s21, 0xffff                                 // 0000000041B4: 8615FF15 0000FFFF
	s_and_b32 s25, s25, 0xffff                                 // 0000000041BC: 8619FF19 0000FFFF
	s_and_b32 s29, s29, 0xffff                                 // 0000000041C4: 861DFF1D 0000FFFF
	s_and_b32 s33, s33, 0xffff                                 // 0000000041CC: 8621FF21 0000FFFF
	s_and_b32 s37, s37, 0xffff                                 // 0000000041D4: 8625FF25 0000FFFF
	s_and_b32 s41, s41, 0xffff                                 // 0000000041DC: 8629FF29 0000FFFF
	s_or_b32 s9, s9, 0x40000                                   // 0000000041E4: 8709FF09 00040000
	s_or_b32 s13, s13, 0x40000                                 // 0000000041EC: 870DFF0D 00040000
	s_or_b32 s17, s17, 0x40000                                 // 0000000041F4: 8711FF11 00040000
	s_or_b32 s21, s21, 0x40000                                 // 0000000041FC: 8715FF15 00040000
	s_or_b32 s25, s25, 0x40000                                 // 000000004204: 8719FF19 00040000
	s_or_b32 s29, s29, 0x40000                                 // 00000000420C: 871DFF1D 00040000
	s_or_b32 s33, s33, 0x40000                                 // 000000004214: 8721FF21 00040000
	s_or_b32 s37, s37, 0x40000                                 // 00000000421C: 8725FF25 00040000
	s_or_b32 s41, s41, 0x40000                                 // 000000004224: 8729FF29 00040000
	v_accvgpr_write_b32 a143, 0                                // 00000000422C: D3D9408F 18000080
	v_mov_b32_e32 v213, 0                                      // 000000004234: 7FAA0280
	s_mov_b32 s78, s8                                          // 000000004238: BECE0008
	s_mov_b32 s80, s12                                         // 00000000423C: BED0000C
	s_mov_b32 s82, s16                                         // 000000004240: BED20010
	s_mov_b32 s84, s20                                         // 000000004244: BED40014
	s_mov_b32 s79, s9                                          // 000000004248: BECF0009
	s_mov_b32 s81, s13                                         // 00000000424C: BED1000D
	s_mov_b32 s83, s17                                         // 000000004250: BED30011
	s_mov_b32 s85, s21                                         // 000000004254: BED50015
	s_mov_b32 s71, s3                                          // 000000004258: BEC70003
	v_cvt_f32_u32_e32 v28, s44                                 // 00000000425C: 7E380C2C
	s_sub_i32 s60, 0, s44                                      // 000000004260: 81BC2C80
	v_rcp_iflag_f32_e32 v28, v28                               // 000000004264: 7E38471C
	s_nop 0                                                    // 000000004268: BF800000
	v_mul_f32_e32 v28, 0x4f7ffffe, v28                         // 00000000426C: 0A3838FF 4F7FFFFE
	v_cvt_u32_f32_e32 v28, v28                                 // 000000004274: 7E380F1C
	v_mul_lo_u32 v29, s60, v28                                 // 000000004278: D285001D 0002383C
	v_mul_hi_u32 v29, v28, v29                                 // 000000004280: D286001D 00023B1C
	v_add_u32_e32 v28, v28, v29                                // 000000004288: 68383B1C
	v_mul_hi_u32 v28, s71, v28                                 // 00000000428C: D286001C 00023847
	v_mul_lo_u32 v29, v28, s44                                 // 000000004294: D285001D 0000591C
	v_sub_u32_e32 v31, s71, v29                                // 00000000429C: 6A3E3A47
	v_add_u32_e32 v30, 1, v28                                  // 0000000042A0: 683C3881
	v_cmp_le_u32_e32 vcc, s44, v31                             // 0000000042A4: 7D963E2C
	v_subrev_u32_e32 v29, s44, v31                             // 0000000042A8: 6C3A3E2C
	s_nop 0                                                    // 0000000042AC: BF800000
	v_cndmask_b32_e32 v28, v28, v30, vcc                       // 0000000042B0: 00383D1C
	v_cndmask_b32_e32 v31, v31, v29, vcc                       // 0000000042B4: 003E3B1F
	v_add_u32_e32 v29, 1, v28                                  // 0000000042B8: 683A3881
	v_cmp_le_u32_e32 vcc, s44, v31                             // 0000000042BC: 7D963E2C
	s_nop 1                                                    // 0000000042C0: BF800001
	v_cndmask_b32_e32 v31, v28, v29, vcc                       // 0000000042C4: 003E3B1C
	s_nop 3                                                    // 0000000042C8: BF800003
	v_readfirstlane_b32 s45, v31                               // 0000000042CC: 7E5A051F
	s_nop 3                                                    // 0000000042D0: BF800003
	v_mov_b32_e32 v28, s47                                     // 0000000042D4: 7E38022F
	v_mul_f32_e32 v28, s48, v28                                // 0000000042D8: 0A383830
	s_mov_b32 s66, 0                                           // 0000000042DC: BEC20080
	s_mov_b32 s58, s49                                         // 0000000042E0: BEBA0031
	s_mov_b32 s59, 0                                           // 0000000042E4: BEBB0080
	s_mov_b32 s63, 0x5040100                                   // 0000000042E8: BEBF00FF 05040100
	s_mov_b32 s64, 0x7060302                                   // 0000000042F0: BEC000FF 07060302
	v_readfirstlane_b32 s57, v28                               // 0000000042F8: 7E72051C
	v_mov_b32_e32 v30, 0x3020706                               // 0000000042FC: 7E3C02FF 03020706
	v_mov_b32_e32 v28, s63                                     // 000000004304: 7E38023F
	v_and_b32_e32 v29, 1, v0                                   // 000000004308: 263A0081
	v_cmp_eq_u32_e32 vcc, 1, v29                               // 00000000430C: 7D943A81
	s_mul_i32 s60, s96, 64                                     // 000000004310: 923CC060
	s_mov_b32 s67, s60                                         // 000000004314: BEC3003C
	v_cndmask_b32_e32 v15, v28, v30, vcc                       // 000000004318: 001E3D1C
	v_mov_b32_e32 v159, 0xff800000                             // 00000000431C: 7F3E02FF FF800000
	s_mul_i32 s68, 4, s5                                       // 000000004324: 92440584
	s_mul_i32 s97, 4, s51                                      // 000000004328: 92613384
	s_mov_b32 s69, 16                                          // 00000000432C: BEC50090
	s_mul_i32 s60, s6, 64                                      // 000000004330: 923CC006
	s_mul_i32 s60, s2, s60                                     // 000000004334: 923C3C02
	s_mul_i32 s61, s45, s76                                    // 000000004338: 923D4C2D
	s_add_u32 s54, s60, s61                                    // 00000000433C: 80363D3C
	s_mul_i32 s60, s2, 64                                      // 000000004340: 923CC002
	s_sub_i32 s60, s50, s60                                    // 000000004344: 81BC3C32
	s_mul_i32 s60, s6, s60                                     // 000000004348: 923C3C06
	s_lshr_b32 s60, s60, 2                                     // 00000000434C: 8F3C823C
	s_mov_b32 s14, s60                                         // 000000004350: BE8E003C
	s_add_u32 s12, s54, s80                                    // 000000004354: 800C5036
	s_addc_u32 s13, 0, s81                                     // 000000004358: 820D5180
	s_mul_i32 s60, s4, s77                                     // 00000000435C: 923C4D04
	s_mul_hi_u32 s61, s4, s77                                  // 000000004360: 963D4D04
	s_and_b32 s61, s61, 0xffff                                 // 000000004364: 863DFF3D 0000FFFF
	s_add_u32 s12, s12, s60                                    // 00000000436C: 800C3C0C
	s_addc_u32 s13, s13, s61                                   // 000000004370: 820D3D0D
	s_mul_i32 s60, s7, 64                                      // 000000004374: 923CC007
	s_mul_i32 s60, s2, s60                                     // 000000004378: 923C3C02
	s_mul_i32 s61, s45, s86                                    // 00000000437C: 923D562D
	s_add_u32 s54, s60, s61                                    // 000000004380: 80363D3C
	s_mul_i32 s60, s2, 64                                      // 000000004384: 923CC002
	s_sub_i32 s60, s50, s60                                    // 000000004388: 81BC3C32
	s_mul_i32 s60, s7, s60                                     // 00000000438C: 923C3C07
	s_lshr_b32 s60, s60, 2                                     // 000000004390: 8F3C823C
	s_mov_b32 s18, s60                                         // 000000004394: BE92003C
	s_add_u32 s16, s54, s82                                    // 000000004398: 80105236
	s_addc_u32 s17, 0, s83                                     // 00000000439C: 82115380
	s_mul_i32 s60, s4, s87                                     // 0000000043A0: 923C5704
	s_mul_hi_u32 s61, s4, s87                                  // 0000000043A4: 963D5704
	s_and_b32 s61, s61, 0xffff                                 // 0000000043A8: 863DFF3D 0000FFFF
	s_add_u32 s16, s16, s60                                    // 0000000043B0: 80103C10
	s_addc_u32 s17, s17, s61                                   // 0000000043B4: 82113D11
	s_mul_i32 s61, s3, s74                                     // 0000000043B8: 923D4A03
	s_mov_b32 s55, s61                                         // 0000000043BC: BEB7003D
	s_mul_i32 s60, s5, s49                                     // 0000000043C0: 923C3105
	s_lshr_b32 s60, s60, 2                                     // 0000000043C4: 8F3C823C
	s_mov_b32 s10, s60                                         // 0000000043C8: BE8A003C
	s_add_u32 s8, s55, s78                                     // 0000000043CC: 80084E37
	s_addc_u32 s9, 0, s79                                      // 0000000043D0: 82094F80
	s_mul_i32 s60, s4, s75                                     // 0000000043D4: 923C4B04
	s_mul_hi_u32 s61, s4, s75                                  // 0000000043D8: 963D4B04
	s_and_b32 s61, s61, 0xffff                                 // 0000000043DC: 863DFF3D 0000FFFF
	s_add_u32 s8, s8, s60                                      // 0000000043E4: 80083C08
	s_addc_u32 s9, s9, s61                                     // 0000000043E8: 82093D09
	s_mul_i32 s61, s3, s88                                     // 0000000043EC: 923D5803
	s_mov_b32 s56, s61                                         // 0000000043F0: BEB8003D
	s_mul_i32 s60, s51, s49                                    // 0000000043F4: 923C3133
	s_lshr_b32 s60, s60, 2                                     // 0000000043F8: 8F3C823C
	s_mov_b32 s22, s60                                         // 0000000043FC: BE96003C
	s_add_u32 s20, s56, s84                                    // 000000004400: 80145438
	s_addc_u32 s21, 0, s85                                     // 000000004404: 82155580
	s_mul_i32 s60, s4, s89                                     // 000000004408: 923C5904
	s_mul_hi_u32 s61, s4, s89                                  // 00000000440C: 963D5904
	s_and_b32 s61, s61, 0xffff                                 // 000000004410: 863DFF3D 0000FFFF
	s_add_u32 s20, s20, s60                                    // 000000004418: 80143C14
	s_addc_u32 s21, s21, s61                                   // 00000000441C: 82153D15
	s_mul_i32 s62, s4, s98                                     // 000000004420: 923E6204
	s_mul_i32 s62, s62, s49                                    // 000000004424: 923E313E
	s_lshl_b32 s62, s62, 2                                     // 000000004428: 8E3E823E
	s_mul_i32 s61, s3, s49                                     // 00000000442C: 923D3103
	s_mul_i32 s61, 4, s61                                      // 000000004430: 923D3D84
	s_add_u32 s65, s61, s62                                    // 000000004434: 80413E3D
	s_mul_i32 s60, 4, s49                                      // 000000004438: 923C3184
	s_add_u32 s60, s60, s61                                    // 00000000443C: 803C3D3C
	s_add_u32 s60, s60, s62                                    // 000000004440: 803C3E3C
	s_lshr_b32 s60, s60, 2                                     // 000000004444: 8F3C823C
	s_mov_b32 s26, s60                                         // 000000004448: BE9A003C
	s_mov_b32 s30, s60                                         // 00000000444C: BE9E003C
	s_cmp_lt_u32 s46, 2                                        // 000000004450: BF0A822E
	s_cselect_b32 s24, s24, s28                                // 000000004454: 85181C18
	s_cselect_b32 s25, s25, s29                                // 000000004458: 85191D19
	s_cselect_b32 s26, s26, s30                                // 00000000445C: 851A1E1A
	s_cselect_b32 s27, s27, s31                                // 000000004460: 851B1F1B
	s_mov_b32 s71, s6                                          // 000000004464: BEC70006
	v_lshrrev_b32_e32 v28, 4, v0                               // 000000004468: 20380084
	v_and_b32_e32 v29, 1, v28                                  // 00000000446C: 263A3881
	v_lshlrev_b32_e32 v29, 1, v29                              // 000000004470: 243A3A81
	v_mul_i32_i24_e32 v29, s71, v29                            // 000000004474: 0C3A3A47
	v_and_b32_e32 v30, 2, v28                                  // 000000004478: 263C3882
	v_lshlrev_b32_e32 v30, 5, v30                              // 00000000447C: 243C3C85
	v_add_u32_e32 v29, v30, v29                                // 000000004480: 683A3B1E
	v_and_b32_e32 v28, 15, v0                                  // 000000004484: 2638008F
	v_lshlrev_b32_e32 v28, 2, v28                              // 000000004488: 24383882
	v_add_u32_e32 v1, v28, v29                                 // 00000000448C: 68023B1C
	s_mul_i32 s60, s46, s71                                    // 000000004490: 923C472E
	s_mul_i32 s60, s60, 4                                      // 000000004494: 923C843C
	v_add_u32_e32 v1, s60, v1                                  // 000000004498: 6802023C
	v_add_u32_e32 v2, s71, v1                                  // 00000000449C: 68040247
	s_mov_b32 s71, s7                                          // 0000000044A0: BEC70007
	v_lshrrev_b32_e32 v28, 4, v0                               // 0000000044A4: 20380084
	v_and_b32_e32 v29, 1, v28                                  // 0000000044A8: 263A3881
	v_lshlrev_b32_e32 v29, 1, v29                              // 0000000044AC: 243A3A81
	v_mul_i32_i24_e32 v29, s71, v29                            // 0000000044B0: 0C3A3A47
	v_and_b32_e32 v30, 2, v28                                  // 0000000044B4: 263C3882
	v_lshlrev_b32_e32 v30, 5, v30                              // 0000000044B8: 243C3C85
	v_add_u32_e32 v29, v30, v29                                // 0000000044BC: 683A3B1E
	v_and_b32_e32 v28, 15, v0                                  // 0000000044C0: 2638008F
	v_lshlrev_b32_e32 v28, 2, v28                              // 0000000044C4: 24383882
	v_add_u32_e32 v212, v28, v29                               // 0000000044C8: 69A83B1C
	s_mul_i32 s60, s46, s71                                    // 0000000044CC: 923C472E
	s_mul_i32 s60, s60, 4                                      // 0000000044D0: 923C843C
	v_add_u32_e32 v212, s60, v212                              // 0000000044D4: 69A9A83C
	v_add_u32_e32 v213, s71, v212                              // 0000000044D8: 69ABA847
	v_lshrrev_b32_e32 v1, 2, v1                                // 0000000044DC: 20020282
	v_lshrrev_b32_e32 v2, 2, v2                                // 0000000044E0: 20040482
	v_lshrrev_b32_e32 v212, 2, v212                            // 0000000044E4: 21A9A882
	v_lshrrev_b32_e32 v213, 2, v213                            // 0000000044E8: 21ABAA82
	v_and_b32_e32 v9, 15, v0                                   // 0000000044EC: 2612008F
	v_lshlrev_b32_e32 v9, 2, v9                                // 0000000044F0: 24121282
	v_add_u32_e32 v9, s65, v9                                  // 0000000044F4: 68121241
	v_lshrrev_b32_e32 v9, 2, v9                                // 0000000044F8: 20121282
	s_mov_b32 s70, s52                                         // 0000000044FC: BEC60034
	v_lshrrev_b32_e32 v28, 3, v0                               // 000000004500: 20380083
	v_mul_i32_i24_e32 v3, s70, v28                             // 000000004504: 0C063846
	v_lshrrev_b32_e32 v3, 2, v3                                // 000000004508: 20060682
	v_and_b32_e32 v28, 7, v0                                   // 00000000450C: 26380087
	v_lshlrev_b32_e32 v29, 2, v28                              // 000000004510: 243A3882
	v_add_u32_e32 v3, v29, v3                                  // 000000004514: 6806071D
	s_mul_i32 s60, 16, s70                                     // 000000004518: 923C4690
	s_mul_i32 s60, s46, s60                                    // 00000000451C: 923C3C2E
	v_lshlrev_b32_e32 v3, 2, v3                                // 000000004520: 24060682
	v_add_u32_e32 v3, s60, v3                                  // 000000004524: 6806063C
	s_mul_i32 s60, 8, s70                                      // 000000004528: 923C4688
	v_add_u32_e32 v4, s60, v3                                  // 00000000452C: 6808063C
	s_mul_i32 s60, 64, s52                                     // 000000004530: 923C34C0
	s_mul_i32 s60, s2, s60                                     // 000000004534: 923C3C02
	s_mul_i32 s61, s3, s90                                     // 000000004538: 923D5A03
	s_mul_i32 s62, s4, s91                                     // 00000000453C: 923E5B04
	s_add_u32 s60, s60, s61                                    // 000000004540: 803C3D3C
	v_add_u32_e32 v3, s60, v3                                  // 000000004544: 6806063C
	v_lshrrev_b32_e32 v3, 2, v3                                // 000000004548: 20060682
	v_add_u32_e32 v4, s60, v4                                  // 00000000454C: 6808083C
	v_lshrrev_b32_e32 v4, 2, v4                                // 000000004550: 20080882
	s_mul_i32 s60, s50, s52                                    // 000000004554: 923C3432
	s_add_u32 s60, s60, s61                                    // 000000004558: 803C3D3C
	s_lshr_b32 s60, s60, 2                                     // 00000000455C: 8F3C823C
	s_mov_b32 s38, s60                                         // 000000004560: BEA6003C
	s_mul_hi_u32 s60, s4, s91                                  // 000000004564: 963C5B04
	s_and_b32 s60, s60, 0xffff                                 // 000000004568: 863CFF3C 0000FFFF
	s_add_u32 s36, s62, s36                                    // 000000004570: 8024243E
	s_addc_u32 s37, s60, s37                                   // 000000004574: 8225253C
	s_mov_b32 s70, s53                                         // 000000004578: BEC60035
	v_lshrrev_b32_e32 v28, 3, v0                               // 00000000457C: 20380083
	v_mul_i32_i24_e32 v5, s70, v28                             // 000000004580: 0C0A3846
	v_lshrrev_b32_e32 v5, 2, v5                                // 000000004584: 200A0A82
	v_and_b32_e32 v28, 7, v0                                   // 000000004588: 26380087
	v_lshlrev_b32_e32 v29, 2, v28                              // 00000000458C: 243A3882
	v_add_u32_e32 v5, v29, v5                                  // 000000004590: 680A0B1D
	s_mul_i32 s60, 16, s70                                     // 000000004594: 923C4690
	s_mul_i32 s60, s46, s60                                    // 000000004598: 923C3C2E
	v_lshlrev_b32_e32 v5, 2, v5                                // 00000000459C: 240A0A82
	v_add_u32_e32 v5, s60, v5                                  // 0000000045A0: 680A0A3C
	s_mul_i32 s60, 8, s70                                      // 0000000045A4: 923C4688
	v_add_u32_e32 v6, s60, v5                                  // 0000000045A8: 680C0A3C
	s_mul_i32 s60, 64, s53                                     // 0000000045AC: 923C35C0
	s_mul_i32 s60, s2, s60                                     // 0000000045B0: 923C3C02
	s_mul_i32 s61, s3, s92                                     // 0000000045B4: 923D5C03
	s_mul_i32 s62, s4, s93                                     // 0000000045B8: 923E5D04
	s_add_u32 s60, s60, s61                                    // 0000000045BC: 803C3D3C
	v_add_u32_e32 v5, s60, v5                                  // 0000000045C0: 680A0A3C
	v_lshrrev_b32_e32 v5, 2, v5                                // 0000000045C4: 200A0A82
	v_add_u32_e32 v6, s60, v6                                  // 0000000045C8: 680C0C3C
	v_lshrrev_b32_e32 v6, 2, v6                                // 0000000045CC: 200C0C82
	s_mul_i32 s60, s50, s53                                    // 0000000045D0: 923C3532
	s_add_u32 s60, s60, s61                                    // 0000000045D4: 803C3D3C
	s_lshr_b32 s60, s60, 2                                     // 0000000045D8: 8F3C823C
	s_mov_b32 s42, s60                                         // 0000000045DC: BEAA003C
	s_mul_hi_u32 s60, s4, s93                                  // 0000000045E0: 963C5D04
	s_and_b32 s60, s60, 0xffff                                 // 0000000045E4: 863CFF3C 0000FFFF
	s_add_u32 s40, s62, s40                                    // 0000000045EC: 8028283E
	s_addc_u32 s41, s60, s41                                   // 0000000045F0: 8229293C
	v_lshrrev_b32_e32 v28, 5, v0                               // 0000000045F4: 20380085
	v_mul_i32_i24_e64 v29, s96, 2                              // 0000000045F8: D106001D 00010460
	v_mul_i32_i24_e32 v7, v29, v28                             // 000000004600: 0C0E391D
	v_and_b32_e32 v28, 31, v0                                  // 000000004604: 2638009F
	v_add_u32_e32 v7, v28, v7                                  // 000000004608: 680E0F1C
	s_mul_i32 s60, 4, s96                                      // 00000000460C: 923C6084
	s_mul_i32 s60, s46, s60                                    // 000000004610: 923C3C2E
	v_add_u32_e32 v7, s60, v7                                  // 000000004614: 680E0E3C
	v_lshlrev_b32_e32 v7, 2, v7                                // 000000004618: 240E0E82
	v_mul_i32_i24_e32 v29, 2, v29                              // 00000000461C: 0C3A3A82
	v_add_u32_e32 v8, v29, v7                                  // 000000004620: 68100F1D
	s_mul_i32 s72, s96, s65                                    // 000000004624: 92484160
	s_mul_hi_u32 s62, s96, s65                                 // 000000004628: 963E4160
	s_and_b32 s62, s62, 0xffff                                 // 00000000462C: 863EFF3E 0000FFFF
	s_add_u32 s32, s72, s32                                    // 000000004634: 80202048
	s_addc_u32 s33, s62, s33                                   // 000000004638: 8221213E
	s_mul_i32 s60, s96, s49                                    // 00000000463C: 923C3160
	s_lshl_b32 s60, s60, 2                                     // 000000004640: 8E3C823C
	s_mov_b32 s34, s60                                         // 000000004644: BEA2003C
	v_mov_b32_e32 v209, 0xffff0000                             // 000000004648: 7FA202FF FFFF0000
	v_mov_b32_e32 v210, 0x7fff0000                             // 000000004650: 7FA402FF 7FFF0000
	v_mov_b32_e32 v211, 0x7fff                                 // 000000004658: 7FA602FF 00007FFF
	s_mul_i32 s60, 64, s2                                      // 000000004660: 923C02C0
	s_sub_i32 s99, s50, s60                                    // 000000004664: 81E33C32
	s_lshr_b32 s60, s46, 1                                     // 000000004668: 8F3C812E
	s_lshl_b32 s60, s60, 8                                     // 00000000466C: 8E3C883C
	s_add_u32 s76, 0x9f00, s60                                 // 000000004670: 804C3CFF 00009F00
	s_add_u32 s77, 0x200, s76                                  // 000000004678: 804D4CFF 00000200
	s_mov_b32 m0, s76                                          // 000000004680: BEFC004C
	v_lshrrev_b32_e32 v28, 2, v0                               // 000000004684: 20380082
	v_and_b32_e32 v29, 3, v28                                  // 000000004688: 263A3883
	v_lshrrev_b32_e32 v30, 3, v28                              // 00000000468C: 203C3883
	v_lshlrev_b32_e32 v30, 2, v30                              // 000000004690: 243C3C82
	v_add_u32_e32 v28, v30, v29                                // 000000004694: 68383B1E
	v_mov_b32_e32 v30, s96                                     // 000000004698: 7E3C0260
	v_mov_b32_e32 v29, 0x80                                    // 00000000469C: 7E3A02FF 00000080
	v_sub_u32_e32 v30, v30, v29                                // 0000000046A4: 6A3C3B1E
	v_lshrrev_b32_e32 v30, 3, v30                              // 0000000046A8: 203C3C83
	v_cmp_lt_u32_e64 s[88:89], v28, v30                        // 0000000046AC: D0C90058 00023D1C
	s_mov_b32 s86, -1                                          // 0000000046B4: BED600C1
	s_mov_b32 s87, -1                                          // 0000000046B8: BED700C1
	v_and_b32_e32 v28, 7, v0                                   // 0000000046BC: 26380087
	v_mov_b32_e32 v29, s96                                     // 0000000046C0: 7E3A0260
	v_mov_b32_e32 v30, 0x80                                    // 0000000046C4: 7E3C02FF 00000080
	v_sub_u32_e32 v29, v29, v30                                // 0000000046CC: 6A3A3D1D
	v_lshrrev_b32_e32 v29, 3, v29                              // 0000000046D0: 203A3A83
	v_cmp_lt_u32_e64 s[90:91], v28, v29                        // 0000000046D4: D0C9005A 00023B1C
	v_and_b32_e32 v28, 31, v0                                  // 0000000046DC: 2638009F
	v_lshrrev_b32_e32 v28, 3, v28                              // 0000000046E0: 20383883
	v_mov_b32_e32 v29, s96                                     // 0000000046E4: 7E3A0260
	v_mov_b32_e32 v30, 0x80                                    // 0000000046E8: 7E3C02FF 00000080
	v_sub_u32_e32 v29, v29, v30                                // 0000000046F0: 6A3A3D1D
	v_lshrrev_b32_e32 v29, 3, v29                              // 0000000046F4: 203A3A83
	v_cmp_lt_u32_e64 s[92:93], v28, v29                        // 0000000046F8: D0C9005C 00023B1C
	v_add_u32_e32 v28, 4, v28                                  // 000000004700: 68383884
	v_cmp_lt_u32_e64 s[94:95], v28, v29                        // 000000004704: D0C9005E 00023B1C
	v_and_b32_e32 v28, 31, v0                                  // 00000000470C: 2638009F
	v_lshrrev_b32_e32 v28, 1, v28                              // 000000004710: 20383881
	v_and_b32_e32 v29, 1, v28                                  // 000000004714: 263A3881
	v_lshlrev_b32_e32 v29, 4, v29                              // 000000004718: 243A3A84
	v_and_b32_e32 v30, 2, v28                                  // 00000000471C: 263C3882
	v_lshlrev_b32_e32 v30, 2, v30                              // 000000004720: 243C3C82
	v_add_u32_e32 v29, v30, v29                                // 000000004724: 683A3B1E
	v_and_b32_e32 v30, 12, v28                                 // 000000004728: 263C388C
	v_lshrrev_b32_e32 v30, 1, v30                              // 00000000472C: 203C3C81
	v_add_u32_e32 v29, v30, v29                                // 000000004730: 683A3B1E
	v_lshrrev_b32_e32 v28, 5, v0                               // 000000004734: 20380085
	v_mul_i32_i24_e32 v30, 0x80, v28                           // 000000004738: 0C3C38FF 00000080
	v_add_u32_e32 v29, v30, v29                                // 000000004740: 683A3B1E
	v_and_b32_e32 v30, 1, v0                                   // 000000004744: 263C0081
	v_add_u32_e32 v11, v30, v29                                // 000000004748: 68163B1E
	s_mul_i32 s60, s46, 32                                     // 00000000474C: 923CA02E
	v_add_u32_e32 v11, s60, v11                                // 000000004750: 6816163C
	v_lshlrev_b32_e32 v11, 2, v11                              // 000000004754: 24161682
	v_lshrrev_b32_e32 v28, 4, v0                               // 000000004758: 20380084
	v_and_b32_e32 v29, 1, v28                                  // 00000000475C: 263A3881
	v_lshlrev_b32_e32 v29, 4, v29                              // 000000004760: 243A3A84
	v_and_b32_e32 v30, 2, v28                                  // 000000004764: 263C3882
	v_mul_i32_i24_e32 v30, 4, v30                              // 000000004768: 0C3C3C84
	v_add_u32_e32 v29, v30, v29                                // 00000000476C: 683A3B1E
	v_and_b32_e32 v28, 15, v0                                  // 000000004770: 2638008F
	v_lshrrev_b32_e32 v30, 2, v28                              // 000000004774: 203C3882
	v_lshlrev_b32_e32 v30, 5, v30                              // 000000004778: 243C3C85
	v_add_u32_e32 v29, v30, v29                                // 00000000477C: 683A3B1E
	v_and_b32_e32 v28, 3, v0                                   // 000000004780: 26380083
	v_and_b32_e32 v30, 1, v28                                  // 000000004784: 263C3881
	v_mul_i32_i24_e32 v30, 0x108, v30                          // 000000004788: 0C3C3CFF 00000108
	v_add_u32_e32 v29, v30, v29                                // 000000004790: 683A3B1E
	v_and_b32_e32 v30, 2, v28                                  // 000000004794: 263C3882
	v_lshlrev_b32_e32 v30, 1, v30                              // 000000004798: 243C3C81
	v_add_u32_e32 v10, v30, v29                                // 00000000479C: 68143B1E
	v_lshlrev_b32_e32 v10, 2, v10                              // 0000000047A0: 24141482
	s_mul_i32 s60, s46, 0x1980                                 // 0000000047A4: 923CFF2E 00001980
	v_add_u32_e32 v22, s60, v10                                // 0000000047AC: 682C143C
	v_lshrrev_b32_e32 v28, 5, v0                               // 0000000047B0: 20380085
	v_mul_i32_i24_e32 v13, 0x80, v28                           // 0000000047B4: 0C1A38FF 00000080
	v_and_b32_e32 v28, 31, v0                                  // 0000000047BC: 2638009F
	v_and_b32_e32 v29, 7, v28                                  // 0000000047C0: 263A3887
	v_and_b32_e32 v30, 1, v29                                  // 0000000047C4: 263C3A81
	v_lshlrev_b32_e32 v30, 2, v30                              // 0000000047C8: 243C3C82
	v_add_u32_e32 v13, v30, v13                                // 0000000047CC: 681A1B1E
	v_and_b32_e32 v30, 2, v29                                  // 0000000047D0: 263C3A82
	v_lshlrev_b32_e32 v30, 3, v30                              // 0000000047D4: 243C3C83
	v_add_u32_e32 v13, v30, v13                                // 0000000047D8: 681A1B1E
	v_and_b32_e32 v30, 4, v29                                  // 0000000047DC: 263C3A84
	v_lshlrev_b32_e32 v30, 1, v30                              // 0000000047E0: 243C3C81
	v_add_u32_e32 v13, v30, v13                                // 0000000047E4: 681A1B1E
	v_lshrrev_b32_e32 v29, 3, v28                              // 0000000047E8: 203A3883
	v_and_b32_e32 v30, 1, v29                                  // 0000000047EC: 263C3A81
	v_lshlrev_b32_e32 v30, 1, v30                              // 0000000047F0: 243C3C81
	v_add_u32_e32 v13, v30, v13                                // 0000000047F4: 681A1B1E
	v_and_b32_e32 v30, 2, v29                                  // 0000000047F8: 263C3A82
	v_lshrrev_b32_e32 v30, 1, v30                              // 0000000047FC: 203C3C81
	v_add_u32_e32 v13, v30, v13                                // 000000004800: 681A1B1E
	s_mul_i32 s60, s46, 32                                     // 000000004804: 923CA02E
	v_add_u32_e32 v13, s60, v13                                // 000000004808: 681A1A3C
	v_lshlrev_b32_e32 v13, 2, v13                              // 00000000480C: 241A1A82
	v_and_b32_e32 v28, 15, v0                                  // 000000004810: 2638008F
	v_and_b32_e32 v30, 1, v28                                  // 000000004814: 263C3881
	v_mul_i32_i24_e32 v12, 0x108, v30                          // 000000004818: 0C183CFF 00000108
	v_and_b32_e32 v30, 2, v28                                  // 000000004820: 263C3882
	v_lshlrev_b32_e32 v30, 1, v30                              // 000000004824: 243C3C81
	v_add_u32_e32 v12, v30, v12                                // 000000004828: 6818191E
	v_and_b32_e32 v30, 4, v28                                  // 00000000482C: 263C3884
	v_lshlrev_b32_e32 v30, 2, v30                              // 000000004830: 243C3C82
	v_add_u32_e32 v12, v30, v12                                // 000000004834: 6818191E
	v_and_b32_e32 v30, 8, v28                                  // 000000004838: 263C3888
	v_add_u32_e32 v12, v30, v12                                // 00000000483C: 6818191E
	v_lshrrev_b32_e32 v28, 4, v0                               // 000000004840: 20380084
	v_and_b32_e32 v30, 1, v28                                  // 000000004844: 263C3881
	v_lshlrev_b32_e32 v30, 5, v30                              // 000000004848: 243C3C85
	v_add_u32_e32 v12, v30, v12                                // 00000000484C: 6818191E
	v_and_b32_e32 v29, 2, v28                                  // 000000004850: 263A3882
	v_mul_i32_i24_e32 v30, 32, v29                             // 000000004854: 0C3C3AA0
	v_add_u32_e32 v12, v30, v12                                // 000000004858: 6818191E
	v_lshlrev_b32_e32 v12, 2, v12                              // 00000000485C: 24181882
	v_lshrrev_b32_e32 v28, 4, v0                               // 000000004860: 20380084
	v_mul_i32_i24_e32 v21, 4, v28                              // 000000004864: 0C2A3884
	v_and_b32_e32 v29, 3, v0                                   // 000000004868: 263A0083
	v_add_u32_e32 v21, v29, v21                                // 00000000486C: 682A2B1D
	v_lshlrev_b32_e32 v21, 2, v21                              // 000000004870: 242A2A82
	v_lshrrev_b32_e32 v28, 5, v0                               // 000000004874: 20380085
	v_mul_i32_i24_e32 v26, 0x104, v28                          // 000000004878: 0C3438FF 00000104
	v_and_b32_e32 v28, 31, v0                                  // 000000004880: 2638009F
	v_and_b32_e32 v29, 7, v28                                  // 000000004884: 263A3887
	v_lshlrev_b32_e32 v30, 2, v29                              // 000000004888: 243C3A82
	v_add_u32_e32 v26, v30, v26                                // 00000000488C: 6834351E
	v_lshrrev_b32_e32 v29, 3, v28                              // 000000004890: 203A3883
	v_and_b32_e32 v30, 1, v29                                  // 000000004894: 263C3A81
	v_mul_i32_i24_e32 v30, 0x82, v30                           // 000000004898: 0C3C3CFF 00000082
	v_add_u32_e32 v26, v30, v26                                // 0000000048A0: 6834351E
	v_and_b32_e32 v30, 2, v29                                  // 0000000048A4: 263C3A82
	v_lshrrev_b32_e32 v30, 1, v30                              // 0000000048A8: 203C3C81
	v_add_u32_e32 v26, v30, v26                                // 0000000048AC: 6834351E
	s_mul_i32 s60, s46, 32                                     // 0000000048B0: 923CA02E
	v_add_u32_e32 v26, s60, v26                                // 0000000048B4: 6834343C
	v_lshlrev_b32_e32 v26, 2, v26                              // 0000000048B8: 24343482
	v_lshrrev_b32_e32 v28, 5, v0                               // 0000000048BC: 20380085
	v_mul_i32_i24_e32 v23, 0x618, v28                          // 0000000048C0: 0C2E38FF 00000618
	v_and_b32_e32 v28, 31, v0                                  // 0000000048C8: 2638009F
	v_lshlrev_b32_e32 v28, 1, v28                              // 0000000048CC: 24383881
	v_add_u32_e32 v23, v28, v23                                // 0000000048D0: 682E2F1C
	s_mul_i32 s60, s46, 0x186                                  // 0000000048D4: 923CFF2E 00000186
	v_add_u32_e32 v23, s60, v23                                // 0000000048DC: 682E2E3C
	v_lshlrev_b32_e32 v23, 2, v23                              // 0000000048E0: 242E2E82
	v_lshrrev_b32_e32 v28, 4, v0                               // 0000000048E4: 20380084
	v_and_b32_e32 v29, 1, v28                                  // 0000000048E8: 263A3881
	v_mul_i32_i24_e32 v19, 0x100, v29                          // 0000000048EC: 0C263AFF 00000100
	v_and_b32_e32 v29, 2, v28                                  // 0000000048F4: 263A3882
	v_mul_i32_i24_e32 v29, 64, v29                             // 0000000048F8: 0C3A3AC0
	v_add_u32_e32 v19, v29, v19                                // 0000000048FC: 6826271D
	v_and_b32_e32 v28, 15, v0                                  // 000000004900: 2638008F
	v_mul_i32_i24_e32 v29, 2, v28                              // 000000004904: 0C3A3882
	v_add_u32_e32 v19, v29, v19                                // 000000004908: 6826271D
	s_mul_i32 s60, s46, 32                                     // 00000000490C: 923CA02E
	v_add_u32_e32 v19, s60, v19                                // 000000004910: 6826263C
	v_lshlrev_b32_e32 v19, 2, v19                              // 000000004914: 24262682
	v_lshlrev_b32_e32 v20, 1, v0                               // 000000004918: 24280081
	s_mul_i32 s60, s46, 0x300                                  // 00000000491C: 923CFF2E 00000300
	v_add_u32_e32 v20, s60, v20                                // 000000004924: 6828283C
	v_lshlrev_b32_e32 v20, 2, v20                              // 000000004928: 24282882
	v_lshrrev_b32_e32 v28, 5, v0                               // 00000000492C: 20380085
	v_mul_i32_i24_e32 v17, 64, v28                             // 000000004930: 0C2238C0
	v_and_b32_e32 v28, 31, v0                                  // 000000004934: 2638009F
	v_and_b32_e32 v28, 3, v28                                  // 000000004938: 26383883
	v_and_b32_e32 v29, 1, v28                                  // 00000000493C: 263A3881
	v_mul_i32_i24_e32 v29, 4, v29                              // 000000004940: 0C3A3A84
	v_add_u32_e32 v17, v29, v17                                // 000000004944: 6822231D
	v_and_b32_e32 v29, 2, v28                                  // 000000004948: 263A3882
	v_mul_i32_i24_e32 v29, 0x44, v29                           // 00000000494C: 0C3A3AFF 00000044
	v_add_u32_e32 v17, v29, v17                                // 000000004954: 6822231D
	v_and_b32_e32 v28, 31, v0                                  // 000000004958: 2638009F
	v_lshrrev_b32_e32 v28, 2, v28                              // 00000000495C: 20383882
	v_lshrrev_b32_e32 v30, 2, v28                              // 000000004960: 203C3882
	v_mul_i32_i24_e32 v29, 16, v30                             // 000000004964: 0C3A3C90
	v_add_u32_e32 v17, v29, v17                                // 000000004968: 6822231D
	v_and_b32_e32 v29, 2, v28                                  // 00000000496C: 263A3882
	v_lshlrev_b32_e32 v29, 4, v29                              // 000000004970: 243A3A84
	v_add_u32_e32 v17, v29, v17                                // 000000004974: 6822231D
	v_and_b32_e32 v29, 1, v28                                  // 000000004978: 263A3881
	v_xor_b32_e32 v29, v30, v29                                // 00000000497C: 2A3A3B1E
	v_mul_i32_i24_e32 v29, 8, v29                              // 000000004980: 0C3A3A88
	v_add_u32_e32 v17, v29, v17                                // 000000004984: 6822231D
	v_lshlrev_b32_e32 v17, 2, v17                              // 000000004988: 24222282
	v_lshrrev_b32_e32 v28, 5, v0                               // 00000000498C: 20380085
	v_mul_i32_i24_e32 v18, 32, v28                             // 000000004990: 0C2438A0
	v_and_b32_e32 v28, 31, v0                                  // 000000004994: 2638009F
	v_and_b32_e32 v28, 3, v28                                  // 000000004998: 26383883
	v_and_b32_e32 v29, 1, v28                                  // 00000000499C: 263A3881
	v_mul_i32_i24_e32 v29, 4, v29                              // 0000000049A0: 0C3A3A84
	v_add_u32_e32 v18, v29, v18                                // 0000000049A4: 6824251D
	v_and_b32_e32 v29, 2, v28                                  // 0000000049A8: 263A3882
	v_lshrrev_b32_e32 v29, 1, v29                              // 0000000049AC: 203A3A81
	v_add_u32_e32 v18, v29, v18                                // 0000000049B0: 6824251D
	v_and_b32_e32 v28, 31, v0                                  // 0000000049B4: 2638009F
	v_lshrrev_b32_e32 v28, 2, v28                              // 0000000049B8: 20383882
	v_and_b32_e32 v30, 1, v28                                  // 0000000049BC: 263C3881
	v_mul_i32_i24_e32 v29, 16, v30                             // 0000000049C0: 0C3A3C90
	v_add_u32_e32 v18, v29, v18                                // 0000000049C4: 6824251D
	v_and_b32_e32 v29, 2, v28                                  // 0000000049C8: 263A3882
	v_add_u32_e32 v18, v29, v18                                // 0000000049CC: 6824251D
	v_lshrrev_b32_e32 v29, 2, v28                              // 0000000049D0: 203A3882
	v_xor_b32_e32 v29, v30, v29                                // 0000000049D4: 2A3A3B1E
	v_mul_i32_i24_e32 v29, 8, v29                              // 0000000049D8: 0C3A3A88
	v_add_u32_e32 v18, v29, v18                                // 0000000049DC: 6824251D
	s_and_b32 s60, 1, s46                                      // 0000000049E0: 863C2E81
	s_mul_i32 s60, s60, 64                                     // 0000000049E4: 923CC03C
	s_lshr_b32 s61, s46, 1                                     // 0000000049E8: 8F3D812E
	s_mul_i32 s61, s61, 0x120                                  // 0000000049EC: 923DFF3D 00000120
	s_add_u32 s60, s60, s61                                    // 0000000049F4: 803C3D3C
	v_add_u32_e32 v18, s60, v18                                // 0000000049F8: 6824243C
	v_lshlrev_b32_e32 v18, 2, v18                              // 0000000049FC: 24242482
	buffer_load_dword v160, v1, s[12:15], 0 idxen              // 000000004A00: E0502000 8003A001
	buffer_load_dword v161, v2, s[12:15], 0 idxen              // 000000004A08: E0502000 8003A102
	buffer_load_dword v162, v1, s[12:15], 0 idxen offset:128   // 000000004A10: E0502080 8003A201
	buffer_load_dword v163, v2, s[12:15], 0 idxen offset:128   // 000000004A18: E0502080 8003A302
	v_mov_b32_e32 v164, 0                                      // 000000004A20: 7F480280
	s_mov_b64 exec, s[88:89]                                   // 000000004A24: BEFE0158
	buffer_load_dword v164, v1, s[12:15], 0 idxen offset:256   // 000000004A28: E0502100 8003A401
	s_mov_b64 exec, s[86:87]                                   // 000000004A30: BEFE0156
	v_mov_b32_e32 v165, 0                                      // 000000004A34: 7F4A0280
	s_mov_b64 exec, s[88:89]                                   // 000000004A38: BEFE0158
	buffer_load_dword v165, v2, s[12:15], 0 idxen offset:256   // 000000004A3C: E0502100 8003A502
	s_mov_b64 exec, s[86:87]                                   // 000000004A44: BEFE0156
	s_mul_i32 s60, 4, s6                                       // 000000004A48: 923C0684
	v_add_u32_e32 v1, s60, v1                                  // 000000004A4C: 6802023C
	v_add_u32_e32 v2, s60, v2                                  // 000000004A50: 6804043C
	buffer_load_dword v166, v1, s[12:15], 0 idxen              // 000000004A54: E0502000 8003A601
	buffer_load_dword v167, v2, s[12:15], 0 idxen              // 000000004A5C: E0502000 8003A702
	buffer_load_dword v168, v1, s[12:15], 0 idxen offset:128   // 000000004A64: E0502080 8003A801
	buffer_load_dword v169, v2, s[12:15], 0 idxen offset:128   // 000000004A6C: E0502080 8003A902
	v_mov_b32_e32 v170, 0                                      // 000000004A74: 7F540280
	s_mov_b64 exec, s[88:89]                                   // 000000004A78: BEFE0158
	buffer_load_dword v170, v1, s[12:15], 0 idxen offset:256   // 000000004A7C: E0502100 8003AA01
	s_mov_b64 exec, s[86:87]                                   // 000000004A84: BEFE0156
	v_mov_b32_e32 v171, 0                                      // 000000004A88: 7F560280
	s_mov_b64 exec, s[88:89]                                   // 000000004A8C: BEFE0158
	buffer_load_dword v171, v2, s[12:15], 0 idxen offset:256   // 000000004A90: E0502100 8003AB02
	s_mov_b64 exec, s[86:87]                                   // 000000004A98: BEFE0156
	s_mul_i32 s60, 4, s6                                       // 000000004A9C: 923C0684
	v_add_u32_e32 v1, s60, v1                                  // 000000004AA0: 6802023C
	v_add_u32_e32 v2, s60, v2                                  // 000000004AA4: 6804043C
	buffer_load_dword v172, v1, s[12:15], 0 idxen              // 000000004AA8: E0502000 8003AC01
	buffer_load_dword v173, v2, s[12:15], 0 idxen              // 000000004AB0: E0502000 8003AD02
	buffer_load_dword v174, v1, s[12:15], 0 idxen offset:128   // 000000004AB8: E0502080 8003AE01
	buffer_load_dword v175, v2, s[12:15], 0 idxen offset:128   // 000000004AC0: E0502080 8003AF02
	v_mov_b32_e32 v176, 0                                      // 000000004AC8: 7F600280
	s_mov_b64 exec, s[88:89]                                   // 000000004ACC: BEFE0158
	buffer_load_dword v176, v1, s[12:15], 0 idxen offset:256   // 000000004AD0: E0502100 8003B001
	s_mov_b64 exec, s[86:87]                                   // 000000004AD8: BEFE0156
	v_mov_b32_e32 v177, 0                                      // 000000004ADC: 7F620280
	s_mov_b64 exec, s[88:89]                                   // 000000004AE0: BEFE0158
	buffer_load_dword v177, v2, s[12:15], 0 idxen offset:256   // 000000004AE4: E0502100 8003B102
	s_mov_b64 exec, s[86:87]                                   // 000000004AEC: BEFE0156
	s_mul_i32 s60, 4, s6                                       // 000000004AF0: 923C0684
	v_add_u32_e32 v1, s60, v1                                  // 000000004AF4: 6802023C
	v_add_u32_e32 v2, s60, v2                                  // 000000004AF8: 6804043C
	buffer_load_dword v178, v1, s[12:15], 0 idxen              // 000000004AFC: E0502000 8003B201
	buffer_load_dword v179, v2, s[12:15], 0 idxen              // 000000004B04: E0502000 8003B302
	buffer_load_dword v180, v1, s[12:15], 0 idxen offset:128   // 000000004B0C: E0502080 8003B401
	buffer_load_dword v181, v2, s[12:15], 0 idxen offset:128   // 000000004B14: E0502080 8003B502
	v_mov_b32_e32 v182, 0                                      // 000000004B1C: 7F6C0280
	s_mov_b64 exec, s[88:89]                                   // 000000004B20: BEFE0158
	buffer_load_dword v182, v1, s[12:15], 0 idxen offset:256   // 000000004B24: E0502100 8003B601
	s_mov_b64 exec, s[86:87]                                   // 000000004B2C: BEFE0156
	v_mov_b32_e32 v183, 0                                      // 000000004B30: 7F6E0280
	s_mov_b64 exec, s[88:89]                                   // 000000004B34: BEFE0158
	buffer_load_dword v183, v2, s[12:15], 0 idxen offset:256   // 000000004B38: E0502100 8003B702
	s_mov_b64 exec, s[86:87]                                   // 000000004B40: BEFE0156
	s_mul_i32 s60, 4, s6                                       // 000000004B44: 923C0684
	v_add_u32_e32 v1, s60, v1                                  // 000000004B48: 6802023C
	v_add_u32_e32 v2, s60, v2                                  // 000000004B4C: 6804043C
	s_waitcnt vmcnt(0) lgkmcnt(0)                              // 000000004B50: BF8C0070
	s_barrier                                                  // 000000004B54: BF8A0000
	v_perm_b32 v184, v161, v160, s63                           // 000000004B58: D1ED00B8 00FF41A1
	v_perm_b32 v185, v161, v160, s64                           // 000000004B60: D1ED00B9 010341A1
	v_perm_b32 v186, v163, v162, s63                           // 000000004B68: D1ED00BA 00FF45A3
	v_perm_b32 v187, v163, v162, s64                           // 000000004B70: D1ED00BB 010345A3
	v_perm_b32 v188, v165, v164, s63                           // 000000004B78: D1ED00BC 00FF49A5
	v_perm_b32 v189, v165, v164, s64                           // 000000004B80: D1ED00BD 010349A5
	v_perm_b32 v190, v167, v166, s63                           // 000000004B88: D1ED00BE 00FF4DA7
	v_perm_b32 v191, v167, v166, s64                           // 000000004B90: D1ED00BF 01034DA7
	v_perm_b32 v192, v169, v168, s63                           // 000000004B98: D1ED00C0 00FF51A9
	v_perm_b32 v193, v169, v168, s64                           // 000000004BA0: D1ED00C1 010351A9
	v_perm_b32 v194, v171, v170, s63                           // 000000004BA8: D1ED00C2 00FF55AB
	v_perm_b32 v195, v171, v170, s64                           // 000000004BB0: D1ED00C3 010355AB
	v_perm_b32 v196, v173, v172, s63                           // 000000004BB8: D1ED00C4 00FF59AD
	v_perm_b32 v197, v173, v172, s64                           // 000000004BC0: D1ED00C5 010359AD
	v_perm_b32 v198, v175, v174, s63                           // 000000004BC8: D1ED00C6 00FF5DAF
	v_perm_b32 v199, v175, v174, s64                           // 000000004BD0: D1ED00C7 01035DAF
	v_perm_b32 v200, v177, v176, s63                           // 000000004BD8: D1ED00C8 00FF61B1
	v_perm_b32 v201, v177, v176, s64                           // 000000004BE0: D1ED00C9 010361B1
	v_perm_b32 v202, v179, v178, s63                           // 000000004BE8: D1ED00CA 00FF65B3
	v_perm_b32 v203, v179, v178, s64                           // 000000004BF0: D1ED00CB 010365B3
	v_perm_b32 v204, v181, v180, s63                           // 000000004BF8: D1ED00CC 00FF69B5
	v_perm_b32 v205, v181, v180, s64                           // 000000004C00: D1ED00CD 010369B5
	v_perm_b32 v206, v183, v182, s63                           // 000000004C08: D1ED00CE 00FF6DB7
	v_perm_b32 v207, v183, v182, s64                           // 000000004C10: D1ED00CF 01036DB7
	ds_write_b32 v26, v184 offset:26112                        // 000000004C18: D81A6600 0000B81A
	ds_write_b32 v26, v185 offset:26120                        // 000000004C20: D81A6608 0000B91A
	ds_write_b32 v26, v186 offset:28192                        // 000000004C28: D81A6E20 0000BA1A
	ds_write_b32 v26, v187 offset:28200                        // 000000004C30: D81A6E28 0000BB1A
	ds_write_b32 v26, v188 offset:30272                        // 000000004C38: D81A7640 0000BC1A
	ds_write_b32 v26, v189 offset:30280                        // 000000004C40: D81A7648 0000BD1A
	ds_write_b32 v26, v190 offset:32352                        // 000000004C48: D81A7E60 0000BE1A
	ds_write_b32 v26, v191 offset:32360                        // 000000004C50: D81A7E68 0000BF1A
	ds_write_b32 v26, v192 offset:34432                        // 000000004C58: D81A8680 0000C01A
	ds_write_b32 v26, v193 offset:34440                        // 000000004C60: D81A8688 0000C11A
	ds_write_b32 v26, v194 offset:36512                        // 000000004C68: D81A8EA0 0000C21A
	ds_write_b32 v26, v195 offset:36520                        // 000000004C70: D81A8EA8 0000C31A
	ds_write_b32 v26, v196 offset:38592                        // 000000004C78: D81A96C0 0000C41A
	ds_write_b32 v26, v197 offset:38600                        // 000000004C80: D81A96C8 0000C51A
	ds_write_b32 v26, v198 offset:40672                        // 000000004C88: D81A9EE0 0000C61A
	ds_write_b32 v26, v199 offset:40680                        // 000000004C90: D81A9EE8 0000C71A
	ds_write_b32 v26, v200 offset:42752                        // 000000004C98: D81AA700 0000C81A
	ds_write_b32 v26, v201 offset:42760                        // 000000004CA0: D81AA708 0000C91A
	ds_write_b32 v26, v202 offset:44832                        // 000000004CA8: D81AAF20 0000CA1A
	ds_write_b32 v26, v203 offset:44840                        // 000000004CB0: D81AAF28 0000CB1A
	ds_write_b32 v26, v204 offset:46912                        // 000000004CB8: D81AB740 0000CC1A
	ds_write_b32 v26, v205 offset:46920                        // 000000004CC0: D81AB748 0000CD1A
	ds_write_b32 v26, v206 offset:48992                        // 000000004CC8: D81ABF60 0000CE1A
	ds_write_b32 v26, v207 offset:49000                        // 000000004CD0: D81ABF68 0000CF1A
	ds_write_b32 v11, v160                                     // 000000004CD8: D81A0000 0000A00B
	ds_write_b32 v11, v161 offset:1056                         // 000000004CE0: D81A0420 0000A10B
	ds_write_b32 v11, v162 offset:2176                         // 000000004CE8: D81A0880 0000A20B
	ds_write_b32 v11, v163 offset:3232                         // 000000004CF0: D81A0CA0 0000A30B
	ds_write_b32 v11, v164 offset:4352                         // 000000004CF8: D81A1100 0000A40B
	ds_write_b32 v11, v165 offset:5408                         // 000000004D00: D81A1520 0000A50B
	ds_write_b32 v11, v166 offset:6528                         // 000000004D08: D81A1980 0000A60B
	ds_write_b32 v11, v167 offset:7584                         // 000000004D10: D81A1DA0 0000A70B
	ds_write_b32 v11, v168 offset:8704                         // 000000004D18: D81A2200 0000A80B
	ds_write_b32 v11, v169 offset:9760                         // 000000004D20: D81A2620 0000A90B
	ds_write_b32 v11, v170 offset:10880                        // 000000004D28: D81A2A80 0000AA0B
	ds_write_b32 v11, v171 offset:11936                        // 000000004D30: D81A2EA0 0000AB0B
	ds_write_b32 v11, v172 offset:13056                        // 000000004D38: D81A3300 0000AC0B
	ds_write_b32 v11, v173 offset:14112                        // 000000004D40: D81A3720 0000AD0B
	ds_write_b32 v11, v174 offset:15232                        // 000000004D48: D81A3B80 0000AE0B
	ds_write_b32 v11, v175 offset:16288                        // 000000004D50: D81A3FA0 0000AF0B
	ds_write_b32 v11, v176 offset:17408                        // 000000004D58: D81A4400 0000B00B
	ds_write_b32 v11, v177 offset:18464                        // 000000004D60: D81A4820 0000B10B
	ds_write_b32 v11, v178 offset:19584                        // 000000004D68: D81A4C80 0000B20B
	ds_write_b32 v11, v179 offset:20640                        // 000000004D70: D81A50A0 0000B30B
	ds_write_b32 v11, v180 offset:21760                        // 000000004D78: D81A5500 0000B40B
	ds_write_b32 v11, v181 offset:22816                        // 000000004D80: D81A5920 0000B50B
	ds_write_b32 v11, v182 offset:23936                        // 000000004D88: D81A5D80 0000B60B
	ds_write_b32 v11, v183 offset:24992                        // 000000004D90: D81A61A0 0000B70B
	s_waitcnt lgkmcnt(0)                                       // 000000004D98: BF8CC07F
	s_barrier                                                  // 000000004D9C: BF8A0000
	buffer_load_dword v160, v212, s[16:19], 0 idxen            // 000000004DA0: E0502000 8004A0D4
	buffer_load_dword v161, v213, s[16:19], 0 idxen            // 000000004DA8: E0502000 8004A1D5
	buffer_load_dword v162, v212, s[16:19], 0 idxen offset:128 // 000000004DB0: E0502080 8004A2D4
	buffer_load_dword v163, v213, s[16:19], 0 idxen offset:128 // 000000004DB8: E0502080 8004A3D5
	v_mov_b32_e32 v164, 0                                      // 000000004DC0: 7F480280
	s_mov_b64 exec, s[88:89]                                   // 000000004DC4: BEFE0158
	buffer_load_dword v164, v212, s[16:19], 0 idxen offset:256 // 000000004DC8: E0502100 8004A4D4
	s_mov_b64 exec, s[86:87]                                   // 000000004DD0: BEFE0156
	v_mov_b32_e32 v165, 0                                      // 000000004DD4: 7F4A0280
	s_mov_b64 exec, s[88:89]                                   // 000000004DD8: BEFE0158
	buffer_load_dword v165, v213, s[16:19], 0 idxen offset:256 // 000000004DDC: E0502100 8004A5D5
	s_mov_b64 exec, s[86:87]                                   // 000000004DE4: BEFE0156
	s_mul_i32 s60, 4, s7                                       // 000000004DE8: 923C0784
	v_add_u32_e32 v212, s60, v212                              // 000000004DEC: 69A9A83C
	v_add_u32_e32 v213, s60, v213                              // 000000004DF0: 69ABAA3C
	buffer_load_dword v166, v212, s[16:19], 0 idxen            // 000000004DF4: E0502000 8004A6D4
	buffer_load_dword v167, v213, s[16:19], 0 idxen            // 000000004DFC: E0502000 8004A7D5
	buffer_load_dword v168, v212, s[16:19], 0 idxen offset:128 // 000000004E04: E0502080 8004A8D4
	buffer_load_dword v169, v213, s[16:19], 0 idxen offset:128 // 000000004E0C: E0502080 8004A9D5
	v_mov_b32_e32 v170, 0                                      // 000000004E14: 7F540280
	s_mov_b64 exec, s[88:89]                                   // 000000004E18: BEFE0158
	buffer_load_dword v170, v212, s[16:19], 0 idxen offset:256 // 000000004E1C: E0502100 8004AAD4
	s_mov_b64 exec, s[86:87]                                   // 000000004E24: BEFE0156
	v_mov_b32_e32 v171, 0                                      // 000000004E28: 7F560280
	s_mov_b64 exec, s[88:89]                                   // 000000004E2C: BEFE0158
	buffer_load_dword v171, v213, s[16:19], 0 idxen offset:256 // 000000004E30: E0502100 8004ABD5
	s_mov_b64 exec, s[86:87]                                   // 000000004E38: BEFE0156
	s_mul_i32 s60, 4, s7                                       // 000000004E3C: 923C0784
	v_add_u32_e32 v212, s60, v212                              // 000000004E40: 69A9A83C
	v_add_u32_e32 v213, s60, v213                              // 000000004E44: 69ABAA3C
	buffer_load_dword v172, v212, s[16:19], 0 idxen            // 000000004E48: E0502000 8004ACD4
	buffer_load_dword v173, v213, s[16:19], 0 idxen            // 000000004E50: E0502000 8004ADD5
	buffer_load_dword v174, v212, s[16:19], 0 idxen offset:128 // 000000004E58: E0502080 8004AED4
	buffer_load_dword v175, v213, s[16:19], 0 idxen offset:128 // 000000004E60: E0502080 8004AFD5
	v_mov_b32_e32 v176, 0                                      // 000000004E68: 7F600280
	s_mov_b64 exec, s[88:89]                                   // 000000004E6C: BEFE0158
	buffer_load_dword v176, v212, s[16:19], 0 idxen offset:256 // 000000004E70: E0502100 8004B0D4
	s_mov_b64 exec, s[86:87]                                   // 000000004E78: BEFE0156
	v_mov_b32_e32 v177, 0                                      // 000000004E7C: 7F620280
	s_mov_b64 exec, s[88:89]                                   // 000000004E80: BEFE0158
	buffer_load_dword v177, v213, s[16:19], 0 idxen offset:256 // 000000004E84: E0502100 8004B1D5
	s_mov_b64 exec, s[86:87]                                   // 000000004E8C: BEFE0156
	s_mul_i32 s60, 4, s7                                       // 000000004E90: 923C0784
	v_add_u32_e32 v212, s60, v212                              // 000000004E94: 69A9A83C
	v_add_u32_e32 v213, s60, v213                              // 000000004E98: 69ABAA3C
	buffer_load_dword v178, v212, s[16:19], 0 idxen            // 000000004E9C: E0502000 8004B2D4
	buffer_load_dword v179, v213, s[16:19], 0 idxen            // 000000004EA4: E0502000 8004B3D5
	buffer_load_dword v180, v212, s[16:19], 0 idxen offset:128 // 000000004EAC: E0502080 8004B4D4
	buffer_load_dword v181, v213, s[16:19], 0 idxen offset:128 // 000000004EB4: E0502080 8004B5D5
	v_mov_b32_e32 v182, 0                                      // 000000004EBC: 7F6C0280
	s_mov_b64 exec, s[88:89]                                   // 000000004EC0: BEFE0158
	buffer_load_dword v182, v212, s[16:19], 0 idxen offset:256 // 000000004EC4: E0502100 8004B6D4
	s_mov_b64 exec, s[86:87]                                   // 000000004ECC: BEFE0156
	v_mov_b32_e32 v183, 0                                      // 000000004ED0: 7F6E0280
	s_mov_b64 exec, s[88:89]                                   // 000000004ED4: BEFE0158
	buffer_load_dword v183, v213, s[16:19], 0 idxen offset:256 // 000000004ED8: E0502100 8004B7D5
	s_mov_b64 exec, s[86:87]                                   // 000000004EE0: BEFE0156
	s_mul_i32 s60, 4, s7                                       // 000000004EE4: 923C0784
	v_add_u32_e32 v212, s60, v212                              // 000000004EE8: 69A9A83C
	v_add_u32_e32 v213, s60, v213                              // 000000004EEC: 69ABAA3C
	ds_read_b64 a[24:25], v23 offset:26112                     // 000000004EF0: DAEC6600 18000017
	ds_read_b64 a[26:27], v23 offset:26632                     // 000000004EF8: DAEC6808 1A000017
	ds_read_b64 a[28:29], v23 offset:27152                     // 000000004F00: DAEC6A10 1C000017
	ds_read_b64 a[30:31], v23 offset:26368                     // 000000004F08: DAEC6700 1E000017
	ds_read_b64 a[32:33], v23 offset:26888                     // 000000004F10: DAEC6908 20000017
	ds_read_b64 a[34:35], v23 offset:27408                     // 000000004F18: DAEC6B10 22000017
	ds_read_b64 a[36:37], v23 offset:38592                     // 000000004F20: DAEC96C0 24000017
	ds_read_b64 a[38:39], v23 offset:39112                     // 000000004F28: DAEC98C8 26000017
	ds_read_b64 a[40:41], v23 offset:39632                     // 000000004F30: DAEC9AD0 28000017
	ds_read_b64 a[42:43], v23 offset:38848                     // 000000004F38: DAEC97C0 2A000017
	ds_read_b64 a[44:45], v23 offset:39368                     // 000000004F40: DAEC99C8 2C000017
	ds_read_b64 a[46:47], v23 offset:39888                     // 000000004F48: DAEC9BD0 2E000017
	ds_read_b128 a[0:3], v22                                   // 000000004F50: DBFE0000 00000016
	ds_read_b128 a[4:7], v22 offset:512                        // 000000004F58: DBFE0200 04000016
	ds_read_b128 a[8:11], v22 offset:2176                      // 000000004F60: DBFE0880 08000016
	ds_read_b128 a[12:15], v22 offset:2688                     // 000000004F68: DBFE0A80 0C000016
	ds_read_b128 a[16:19], v22 offset:4352                     // 000000004F70: DBFE1100 10000016
	ds_read_b128 a[20:23], v22 offset:4864                     // 000000004F78: DBFE1300 14000016
	s_waitcnt vmcnt(0) lgkmcnt(0)                              // 000000004F80: BF8C0070
	s_barrier                                                  // 000000004F84: BF8A0000
	ds_write_b32 v11, v160                                     // 000000004F88: D81A0000 0000A00B
	ds_write_b32 v11, v161 offset:1056                         // 000000004F90: D81A0420 0000A10B
	ds_write_b32 v11, v162 offset:2176                         // 000000004F98: D81A0880 0000A20B
	ds_write_b32 v11, v163 offset:3232                         // 000000004FA0: D81A0CA0 0000A30B
	ds_write_b32 v11, v164 offset:4352                         // 000000004FA8: D81A1100 0000A40B
	ds_write_b32 v11, v165 offset:5408                         // 000000004FB0: D81A1520 0000A50B
	ds_write_b32 v11, v166 offset:6528                         // 000000004FB8: D81A1980 0000A60B
	ds_write_b32 v11, v167 offset:7584                         // 000000004FC0: D81A1DA0 0000A70B
	ds_write_b32 v11, v168 offset:8704                         // 000000004FC8: D81A2200 0000A80B
	ds_write_b32 v11, v169 offset:9760                         // 000000004FD0: D81A2620 0000A90B
	ds_write_b32 v11, v170 offset:10880                        // 000000004FD8: D81A2A80 0000AA0B
	ds_write_b32 v11, v171 offset:11936                        // 000000004FE0: D81A2EA0 0000AB0B
	ds_write_b32 v11, v172 offset:13056                        // 000000004FE8: D81A3300 0000AC0B
	ds_write_b32 v11, v173 offset:14112                        // 000000004FF0: D81A3720 0000AD0B
	ds_write_b32 v11, v174 offset:15232                        // 000000004FF8: D81A3B80 0000AE0B
	ds_write_b32 v11, v175 offset:16288                        // 000000005000: D81A3FA0 0000AF0B
	ds_write_b32 v11, v176 offset:17408                        // 000000005008: D81A4400 0000B00B
	ds_write_b32 v11, v177 offset:18464                        // 000000005010: D81A4820 0000B10B
	ds_write_b32 v11, v178 offset:19584                        // 000000005018: D81A4C80 0000B20B
	ds_write_b32 v11, v179 offset:20640                        // 000000005020: D81A50A0 0000B30B
	ds_write_b32 v11, v180 offset:21760                        // 000000005028: D81A5500 0000B40B
	ds_write_b32 v11, v181 offset:22816                        // 000000005030: D81A5920 0000B50B
	ds_write_b32 v11, v182 offset:23936                        // 000000005038: D81A5D80 0000B60B
	ds_write_b32 v11, v183 offset:24992                        // 000000005040: D81A61A0 0000B70B
	s_mov_b32 s71, s5                                          // 000000005048: BEC70005
	v_lshrrev_b32_e32 v28, 4, v0                               // 00000000504C: 20380084
	v_and_b32_e32 v29, 1, v28                                  // 000000005050: 263A3881
	v_lshlrev_b32_e32 v29, 1, v29                              // 000000005054: 243A3A81
	v_mul_i32_i24_e32 v29, s71, v29                            // 000000005058: 0C3A3A47
	v_and_b32_e32 v30, 2, v28                                  // 00000000505C: 263C3882
	v_lshlrev_b32_e32 v30, 5, v30                              // 000000005060: 243C3C85
	v_add_u32_e32 v29, v30, v29                                // 000000005064: 683A3B1E
	v_and_b32_e32 v28, 15, v0                                  // 000000005068: 2638008F
	v_lshlrev_b32_e32 v28, 2, v28                              // 00000000506C: 24383882
	v_add_u32_e32 v1, v28, v29                                 // 000000005070: 68023B1C
	s_mul_i32 s60, s46, s71                                    // 000000005074: 923C472E
	s_mul_i32 s60, s60, 4                                      // 000000005078: 923C843C
	v_add_u32_e32 v1, s60, v1                                  // 00000000507C: 6802023C
	v_add_u32_e32 v2, s71, v1                                  // 000000005080: 68040247
	s_mov_b32 s71, s51                                         // 000000005084: BEC70033
	v_lshrrev_b32_e32 v28, 4, v0                               // 000000005088: 20380084
	v_and_b32_e32 v29, 1, v28                                  // 00000000508C: 263A3881
	v_lshlrev_b32_e32 v29, 1, v29                              // 000000005090: 243A3A81
	v_mul_i32_i24_e32 v29, s71, v29                            // 000000005094: 0C3A3A47
	v_and_b32_e32 v30, 2, v28                                  // 000000005098: 263C3882
	v_lshlrev_b32_e32 v30, 5, v30                              // 00000000509C: 243C3C85
	v_add_u32_e32 v29, v30, v29                                // 0000000050A0: 683A3B1E
	v_and_b32_e32 v28, 15, v0                                  // 0000000050A4: 2638008F
	v_lshlrev_b32_e32 v28, 2, v28                              // 0000000050A8: 24383882
	v_add_u32_e32 v212, v28, v29                               // 0000000050AC: 69A83B1C
	s_mul_i32 s60, s46, s71                                    // 0000000050B0: 923C472E
	s_mul_i32 s60, s60, 4                                      // 0000000050B4: 923C843C
	v_add_u32_e32 v212, s60, v212                              // 0000000050B8: 69A9A83C
	v_add_u32_e32 v213, s71, v212                              // 0000000050BC: 69ABA847
	v_lshrrev_b32_e32 v1, 2, v1                                // 0000000050C0: 20020282
	v_lshrrev_b32_e32 v2, 2, v2                                // 0000000050C4: 20040482
	v_lshrrev_b32_e32 v212, 2, v212                            // 0000000050C8: 21A9A882
	v_lshrrev_b32_e32 v213, 2, v213                            // 0000000050CC: 21ABAA82
	buffer_load_dword v32, v1, s[8:11], 0 idxen                // 0000000050D0: E0502000 80022001
	buffer_load_dword v33, v2, s[8:11], 0 idxen                // 0000000050D8: E0502000 80022102
	buffer_load_dword v34, v1, s[8:11], 0 idxen offset:128     // 0000000050E0: E0502080 80022201
	buffer_load_dword v35, v2, s[8:11], 0 idxen offset:128     // 0000000050E8: E0502080 80022302
	v_mov_b32_e32 v36, 0                                       // 0000000050F0: 7E480280
	s_mov_b64 exec, s[88:89]                                   // 0000000050F4: BEFE0158
	buffer_load_dword v36, v1, s[8:11], 0 idxen offset:256     // 0000000050F8: E0502100 80022401
	s_mov_b64 exec, s[86:87]                                   // 000000005100: BEFE0156
	v_mov_b32_e32 v37, 0                                       // 000000005104: 7E4A0280
	s_mov_b64 exec, s[88:89]                                   // 000000005108: BEFE0158
	buffer_load_dword v37, v2, s[8:11], 0 idxen offset:256     // 00000000510C: E0502100 80022502
	s_mov_b64 exec, s[86:87]                                   // 000000005114: BEFE0156
	buffer_load_dword v44, v212, s[20:23], 0 idxen             // 000000005118: E0502000 80052CD4
	buffer_load_dword v45, v213, s[20:23], 0 idxen             // 000000005120: E0502000 80052DD5
	buffer_load_dword v46, v212, s[20:23], 0 idxen offset:128  // 000000005128: E0502080 80052ED4
	buffer_load_dword v47, v213, s[20:23], 0 idxen offset:128  // 000000005130: E0502080 80052FD5
	v_mov_b32_e32 v48, 0                                       // 000000005138: 7E600280
	s_mov_b64 exec, s[88:89]                                   // 00000000513C: BEFE0158
	buffer_load_dword v48, v212, s[20:23], 0 idxen offset:256  // 000000005140: E0502100 800530D4
	s_mov_b64 exec, s[86:87]                                   // 000000005148: BEFE0156
	v_mov_b32_e32 v49, 0                                       // 00000000514C: 7E620280
	s_mov_b64 exec, s[88:89]                                   // 000000005150: BEFE0158
	buffer_load_dword v49, v213, s[20:23], 0 idxen offset:256  // 000000005154: E0502100 800531D5
	s_mov_b64 exec, s[86:87]                                   // 00000000515C: BEFE0156
	s_waitcnt lgkmcnt(0)                                       // 000000005160: BF8CC07F
	s_barrier                                                  // 000000005164: BF8A0000
	ds_read_b128 a[48:51], v22                                 // 000000005168: DBFE0000 30000016
	ds_read_b128 a[52:55], v22 offset:512                      // 000000005170: DBFE0200 34000016
	ds_read_b128 a[56:59], v22 offset:2176                     // 000000005178: DBFE0880 38000016
	ds_read_b128 a[60:63], v22 offset:2688                     // 000000005180: DBFE0A80 3C000016
	ds_read_b128 a[64:67], v22 offset:4352                     // 000000005188: DBFE1100 40000016
	ds_read_b128 a[68:71], v22 offset:4864                     // 000000005190: DBFE1300 44000016
	v_add_u32_e32 v1, s68, v1                                  // 000000005198: 68020244
	v_add_u32_e32 v2, s68, v2                                  // 00000000519C: 68040444
	v_add_u32_e32 v212, s97, v212                              // 0000000051A0: 69A9A861
	v_add_u32_e32 v213, s97, v213                              // 0000000051A4: 69ABAA61
	buffer_load_dword v38, v1, s[8:11], 0 idxen                // 0000000051A8: E0502000 80022601
	buffer_load_dword v39, v2, s[8:11], 0 idxen                // 0000000051B0: E0502000 80022702
	buffer_load_dword v40, v1, s[8:11], 0 idxen offset:128     // 0000000051B8: E0502080 80022801
	buffer_load_dword v41, v2, s[8:11], 0 idxen offset:128     // 0000000051C0: E0502080 80022902
	v_mov_b32_e32 v42, 0                                       // 0000000051C8: 7E540280
	s_mov_b64 exec, s[88:89]                                   // 0000000051CC: BEFE0158
	buffer_load_dword v42, v1, s[8:11], 0 idxen offset:256     // 0000000051D0: E0502100 80022A01
	s_mov_b64 exec, s[86:87]                                   // 0000000051D8: BEFE0156
	v_mov_b32_e32 v43, 0                                       // 0000000051DC: 7E560280
	s_mov_b64 exec, s[88:89]                                   // 0000000051E0: BEFE0158
	buffer_load_dword v43, v2, s[8:11], 0 idxen offset:256     // 0000000051E4: E0502100 80022B02
	s_mov_b64 exec, s[86:87]                                   // 0000000051EC: BEFE0156
	buffer_load_dword v50, v212, s[20:23], 0 idxen             // 0000000051F0: E0502000 800532D4
	buffer_load_dword v51, v213, s[20:23], 0 idxen             // 0000000051F8: E0502000 800533D5
	buffer_load_dword v52, v212, s[20:23], 0 idxen offset:128  // 000000005200: E0502080 800534D4
	buffer_load_dword v53, v213, s[20:23], 0 idxen offset:128  // 000000005208: E0502080 800535D5
	v_mov_b32_e32 v54, 0                                       // 000000005210: 7E6C0280
	s_mov_b64 exec, s[88:89]                                   // 000000005214: BEFE0158
	buffer_load_dword v54, v212, s[20:23], 0 idxen offset:256  // 000000005218: E0502100 800536D4
	s_mov_b64 exec, s[86:87]                                   // 000000005220: BEFE0156
	v_mov_b32_e32 v55, 0                                       // 000000005224: 7E6E0280
	s_mov_b64 exec, s[88:89]                                   // 000000005228: BEFE0158
	buffer_load_dword v55, v213, s[20:23], 0 idxen offset:256  // 00000000522C: E0502100 800537D5
	s_mov_b64 exec, s[86:87]                                   // 000000005234: BEFE0156
	v_add_u32_e32 v1, s68, v1                                  // 000000005238: 68020244
	v_add_u32_e32 v2, s68, v2                                  // 00000000523C: 68040444
	v_add_u32_e32 v212, s97, v212                              // 000000005240: 69A9A861
	v_add_u32_e32 v213, s97, v213                              // 000000005244: 69ABAA61
	s_waitcnt vmcnt(12) lgkmcnt(0)                             // 000000005248: BF8C007C
	s_barrier                                                  // 00000000524C: BF8A0000
	buffer_load_dword v9, s[24:27], 0 idxen lds                // 000000005250: E0512000 80060009
	s_mov_b32 m0, s77                                          // 000000005258: BEFC004D
	v_add_u32_e32 v9, s69, v9                                  // 00000000525C: 68121245
	v_perm_b32 v68, v33, v32, s63                              // 000000005260: D1ED0044 00FE4121
	v_perm_b32 v69, v33, v32, s64                              // 000000005268: D1ED0045 01024121
	v_perm_b32 v70, v35, v34, s63                              // 000000005270: D1ED0046 00FE4523
	v_perm_b32 v71, v35, v34, s64                              // 000000005278: D1ED0047 01024523
	v_perm_b32 v72, v37, v36, s63                              // 000000005280: D1ED0048 00FE4925
	v_perm_b32 v73, v37, v36, s64                              // 000000005288: D1ED0049 01024925
	ds_write_b32 v13, v68 offset:6528                          // 000000005290: D81A1980 0000440D
	ds_write_b32 v13, v69 offset:7584                          // 000000005298: D81A1DA0 0000450D
	ds_write_b32 v13, v70 offset:8704                          // 0000000052A0: D81A2200 0000460D
	ds_write_b32 v13, v71 offset:9760                          // 0000000052A8: D81A2620 0000470D
	ds_write_b32 v13, v72 offset:10880                         // 0000000052B0: D81A2A80 0000480D
	ds_write_b32 v13, v73 offset:11936                         // 0000000052B8: D81A2EA0 0000490D
	ds_write_b32 v11, v32                                      // 0000000052C0: D81A0000 0000200B
	ds_write_b32 v11, v33 offset:1056                          // 0000000052C8: D81A0420 0000210B
	ds_write_b32 v11, v34 offset:2176                          // 0000000052D0: D81A0880 0000220B
	ds_write_b32 v11, v35 offset:3232                          // 0000000052D8: D81A0CA0 0000230B
	ds_write_b32 v11, v36 offset:4352                          // 0000000052E0: D81A1100 0000240B
	ds_write_b32 v11, v37 offset:5408                          // 0000000052E8: D81A1520 0000250B
	buffer_load_dword v9, s[24:27], 0 idxen lds                // 0000000052F0: E0512000 80060009
	s_mov_b32 m0, s76                                          // 0000000052F8: BEFC004C
	v_add_u32_e32 v9, s69, v9                                  // 0000000052FC: 68121245
	v_perm_b32 v74, v45, v44, s63                              // 000000005300: D1ED004A 00FE592D
	v_perm_b32 v75, v45, v44, s64                              // 000000005308: D1ED004B 0102592D
	v_perm_b32 v76, v47, v46, s63                              // 000000005310: D1ED004C 00FE5D2F
	v_perm_b32 v77, v47, v46, s64                              // 000000005318: D1ED004D 01025D2F
	v_perm_b32 v78, v49, v48, s63                              // 000000005320: D1ED004E 00FE6131
	v_perm_b32 v79, v49, v48, s64                              // 000000005328: D1ED004F 01026131
	ds_write_b32 v13, v74 offset:19584                         // 000000005330: D81A4C80 00004A0D
	ds_write_b32 v13, v75 offset:20640                         // 000000005338: D81A50A0 00004B0D
	ds_write_b32 v13, v76 offset:21760                         // 000000005340: D81A5500 00004C0D
	ds_write_b32 v13, v77 offset:22816                         // 000000005348: D81A5920 00004D0D
	ds_write_b32 v13, v78 offset:23936                         // 000000005350: D81A5D80 00004E0D
	ds_write_b32 v13, v79 offset:24992                         // 000000005358: D81A61A0 00004F0D
	ds_write_b32 v11, v44 offset:13056                         // 000000005360: D81A3300 00002C0B
	ds_write_b32 v11, v45 offset:14112                         // 000000005368: D81A3720 00002D0B
	ds_write_b32 v11, v46 offset:15232                         // 000000005370: D81A3B80 00002E0B
	ds_write_b32 v11, v47 offset:16288                         // 000000005378: D81A3FA0 00002F0B
	ds_write_b32 v11, v48 offset:17408                         // 000000005380: D81A4400 0000300B
	ds_write_b32 v11, v49 offset:18464                         // 000000005388: D81A4820 0000310B
	s_waitcnt vmcnt(1) lgkmcnt(0)                              // 000000005390: BF8C0071
	s_barrier                                                  // 000000005394: BF8A0000
	ds_read_b128 a[72:75], v10                                 // 000000005398: DBFE0000 4800000A
	ds_read_b128 a[76:79], v10 offset:512                      // 0000000053A0: DBFE0200 4C00000A
	ds_read_b128 a[80:83], v10 offset:2176                     // 0000000053A8: DBFE0880 5000000A
	ds_read_b128 a[84:87], v10 offset:2688                     // 0000000053B0: DBFE0A80 5400000A
	ds_read_b128 a[88:91], v10 offset:4352                     // 0000000053B8: DBFE1100 5800000A
	ds_read_b128 a[92:95], v10 offset:4864                     // 0000000053C0: DBFE1300 5C00000A
	ds_read_b128 v[80:83], v10 offset:13056                    // 0000000053C8: D9FE3300 5000000A
	ds_read_b128 v[84:87], v10 offset:13568                    // 0000000053D0: D9FE3500 5400000A
	ds_read_b128 v[88:91], v10 offset:15232                    // 0000000053D8: D9FE3B80 5800000A
	ds_read_b128 v[92:95], v10 offset:15744                    // 0000000053E0: D9FE3D80 5C00000A
	ds_read_b128 v[96:99], v10 offset:17408                    // 0000000053E8: D9FE4400 6000000A
	ds_read_b128 v[100:103], v10 offset:17920                  // 0000000053F0: D9FE4600 6400000A
	ds_read_b32 v128, v21 offset:40704                         // 0000000053F8: D86C9F00 80000015
	ds_read_b32 v158, v21 offset:40960                         // 000000005400: D86CA000 9E000015
	v_accvgpr_write_b32 a96, 0                                 // 000000005408: D3D94060 18000080
	v_mov_b32_e32 v160, 0                                      // 000000005410: 7F400280
	v_accvgpr_write_b32 a97, 0                                 // 000000005414: D3D94061 18000080
	v_mov_b32_e32 v161, 0                                      // 00000000541C: 7F420280
	v_accvgpr_write_b32 a98, 0                                 // 000000005420: D3D94062 18000080
	v_mov_b32_e32 v162, 0                                      // 000000005428: 7F440280
	v_accvgpr_write_b32 a99, 0                                 // 00000000542C: D3D94063 18000080
	v_mov_b32_e32 v163, 0                                      // 000000005434: 7F460280
	v_accvgpr_write_b32 a100, 0                                // 000000005438: D3D94064 18000080
	v_mov_b32_e32 v164, 0                                      // 000000005440: 7F480280
	v_accvgpr_write_b32 a101, 0                                // 000000005444: D3D94065 18000080
	v_mov_b32_e32 v165, 0                                      // 00000000544C: 7F4A0280
	v_accvgpr_write_b32 a102, 0                                // 000000005450: D3D94066 18000080
	v_mov_b32_e32 v166, 0                                      // 000000005458: 7F4C0280
	v_accvgpr_write_b32 a103, 0                                // 00000000545C: D3D94067 18000080
	v_mov_b32_e32 v167, 0                                      // 000000005464: 7F4E0280
	v_accvgpr_write_b32 a104, 0                                // 000000005468: D3D94068 18000080
	v_mov_b32_e32 v168, 0                                      // 000000005470: 7F500280
	v_accvgpr_write_b32 a105, 0                                // 000000005474: D3D94069 18000080
	v_mov_b32_e32 v169, 0                                      // 00000000547C: 7F520280
	v_accvgpr_write_b32 a106, 0                                // 000000005480: D3D9406A 18000080
	v_mov_b32_e32 v170, 0                                      // 000000005488: 7F540280
	v_accvgpr_write_b32 a107, 0                                // 00000000548C: D3D9406B 18000080
	v_mov_b32_e32 v171, 0                                      // 000000005494: 7F560280
	v_accvgpr_write_b32 a108, 0                                // 000000005498: D3D9406C 18000080
	v_mov_b32_e32 v172, 0                                      // 0000000054A0: 7F580280
	v_accvgpr_write_b32 a109, 0                                // 0000000054A4: D3D9406D 18000080
	v_mov_b32_e32 v173, 0                                      // 0000000054AC: 7F5A0280
	v_accvgpr_write_b32 a110, 0                                // 0000000054B0: D3D9406E 18000080
	v_mov_b32_e32 v174, 0                                      // 0000000054B8: 7F5C0280
	v_accvgpr_write_b32 a111, 0                                // 0000000054BC: D3D9406F 18000080
	v_mov_b32_e32 v175, 0                                      // 0000000054C4: 7F5E0280
	v_accvgpr_write_b32 a112, 0                                // 0000000054C8: D3D94070 18000080
	v_mov_b32_e32 v176, 0                                      // 0000000054D0: 7F600280
	v_accvgpr_write_b32 a113, 0                                // 0000000054D4: D3D94071 18000080
	v_mov_b32_e32 v177, 0                                      // 0000000054DC: 7F620280
	v_accvgpr_write_b32 a114, 0                                // 0000000054E0: D3D94072 18000080
	v_mov_b32_e32 v178, 0                                      // 0000000054E8: 7F640280
	v_accvgpr_write_b32 a115, 0                                // 0000000054EC: D3D94073 18000080
	v_mov_b32_e32 v179, 0                                      // 0000000054F4: 7F660280
	v_accvgpr_write_b32 a116, 0                                // 0000000054F8: D3D94074 18000080
	v_mov_b32_e32 v180, 0                                      // 000000005500: 7F680280
	v_accvgpr_write_b32 a117, 0                                // 000000005504: D3D94075 18000080
	v_mov_b32_e32 v181, 0                                      // 00000000550C: 7F6A0280
	v_accvgpr_write_b32 a118, 0                                // 000000005510: D3D94076 18000080
	v_mov_b32_e32 v182, 0                                      // 000000005518: 7F6C0280
	v_accvgpr_write_b32 a119, 0                                // 00000000551C: D3D94077 18000080
	v_mov_b32_e32 v183, 0                                      // 000000005524: 7F6E0280
	v_accvgpr_write_b32 a120, 0                                // 000000005528: D3D94078 18000080
	v_mov_b32_e32 v184, 0                                      // 000000005530: 7F700280
	v_accvgpr_write_b32 a121, 0                                // 000000005534: D3D94079 18000080
	v_mov_b32_e32 v185, 0                                      // 00000000553C: 7F720280
	v_accvgpr_write_b32 a122, 0                                // 000000005540: D3D9407A 18000080
	v_mov_b32_e32 v186, 0                                      // 000000005548: 7F740280
	v_accvgpr_write_b32 a123, 0                                // 00000000554C: D3D9407B 18000080
	v_mov_b32_e32 v187, 0                                      // 000000005554: 7F760280
	v_accvgpr_write_b32 a124, 0                                // 000000005558: D3D9407C 18000080
	v_mov_b32_e32 v188, 0                                      // 000000005560: 7F780280
	v_accvgpr_write_b32 a125, 0                                // 000000005564: D3D9407D 18000080
	v_mov_b32_e32 v189, 0                                      // 00000000556C: 7F7A0280
	v_accvgpr_write_b32 a126, 0                                // 000000005570: D3D9407E 18000080
	v_mov_b32_e32 v190, 0                                      // 000000005578: 7F7C0280
	v_accvgpr_write_b32 a127, 0                                // 00000000557C: D3D9407F 18000080
	v_mov_b32_e32 v191, 0                                      // 000000005584: 7F7E0280
	v_accvgpr_write_b32 a128, 0                                // 000000005588: D3D94080 18000080
	v_mov_b32_e32 v192, 0                                      // 000000005590: 7F800280
	v_accvgpr_write_b32 a129, 0                                // 000000005594: D3D94081 18000080
	v_mov_b32_e32 v193, 0                                      // 00000000559C: 7F820280
	v_accvgpr_write_b32 a130, 0                                // 0000000055A0: D3D94082 18000080
	v_mov_b32_e32 v194, 0                                      // 0000000055A8: 7F840280
	v_accvgpr_write_b32 a131, 0                                // 0000000055AC: D3D94083 18000080
	v_mov_b32_e32 v195, 0                                      // 0000000055B4: 7F860280
	v_accvgpr_write_b32 a132, 0                                // 0000000055B8: D3D94084 18000080
	v_mov_b32_e32 v196, 0                                      // 0000000055C0: 7F880280
	v_accvgpr_write_b32 a133, 0                                // 0000000055C4: D3D94085 18000080
	v_mov_b32_e32 v197, 0                                      // 0000000055CC: 7F8A0280
	v_accvgpr_write_b32 a134, 0                                // 0000000055D0: D3D94086 18000080
	v_mov_b32_e32 v198, 0                                      // 0000000055D8: 7F8C0280
	v_accvgpr_write_b32 a135, 0                                // 0000000055DC: D3D94087 18000080
	v_mov_b32_e32 v199, 0                                      // 0000000055E4: 7F8E0280
	v_accvgpr_write_b32 a136, 0                                // 0000000055E8: D3D94088 18000080
	v_mov_b32_e32 v200, 0                                      // 0000000055F0: 7F900280
	v_accvgpr_write_b32 a137, 0                                // 0000000055F4: D3D94089 18000080
	v_mov_b32_e32 v201, 0                                      // 0000000055FC: 7F920280
	v_accvgpr_write_b32 a138, 0                                // 000000005600: D3D9408A 18000080
	v_mov_b32_e32 v202, 0                                      // 000000005608: 7F940280
	v_accvgpr_write_b32 a139, 0                                // 00000000560C: D3D9408B 18000080
	v_mov_b32_e32 v203, 0                                      // 000000005614: 7F960280
	v_accvgpr_write_b32 a140, 0                                // 000000005618: D3D9408C 18000080
	v_mov_b32_e32 v204, 0                                      // 000000005620: 7F980280
	v_accvgpr_write_b32 a141, 0                                // 000000005624: D3D9408D 18000080
	v_mov_b32_e32 v205, 0                                      // 00000000562C: 7F9A0280
	v_accvgpr_write_b32 a142, 0                                // 000000005630: D3D9408E 18000080
	v_mov_b32_e32 v206, 0                                      // 000000005638: 7F9C0280
	v_accvgpr_write_b32 a143, 0                                // 00000000563C: D3D9408F 18000080
	v_mov_b32_e32 v207, 0                                      // 000000005644: 7F9E0280
	v_mov_b32_e32 v144, 0                                      // 000000005648: 7F200280
	v_mov_b32_e32 v145, 0                                      // 00000000564C: 7F220280
	v_mov_b32_e32 v146, 0                                      // 000000005650: 7F240280
	v_mov_b32_e32 v147, 0                                      // 000000005654: 7F260280
	v_mov_b32_e32 v148, 0                                      // 000000005658: 7F280280
	v_mov_b32_e32 v149, 0                                      // 00000000565C: 7F2A0280
	v_mov_b32_e32 v150, 0                                      // 000000005660: 7F2C0280
	v_mov_b32_e32 v151, 0                                      // 000000005664: 7F2E0280
	v_mov_b32_e32 v152, 0                                      // 000000005668: 7F300280
	v_mov_b32_e32 v153, 0                                      // 00000000566C: 7F320280
	v_mov_b32_e32 v154, 0                                      // 000000005670: 7F340280
	v_mov_b32_e32 v155, 0                                      // 000000005674: 7F360280
	v_mov_b32_e32 v132, 0                                      // 000000005678: 7F080280
	v_mov_b32_e32 v133, 0                                      // 00000000567C: 7F0A0280
	v_mov_b32_e32 v134, 0                                      // 000000005680: 7F0C0280
	v_mov_b32_e32 v135, 0                                      // 000000005684: 7F0E0280
	v_mov_b32_e32 v136, 0                                      // 000000005688: 7F100280
	v_mov_b32_e32 v137, 0                                      // 00000000568C: 7F120280
	v_mov_b32_e32 v138, 0                                      // 000000005690: 7F140280
	v_mov_b32_e32 v139, 0                                      // 000000005694: 7F160280
	v_mov_b32_e32 v140, 0                                      // 000000005698: 7F180280
	v_mov_b32_e32 v141, 0                                      // 00000000569C: 7F1A0280
	v_mov_b32_e32 v142, 0                                      // 0000000056A0: 7F1C0280
	v_mov_b32_e32 v143, 0                                      // 0000000056A4: 7F1E0280
	s_waitcnt lgkmcnt(0)                                       // 0000000056A8: BF8CC07F
	s_barrier                                                  // 0000000056AC: BF8A0000
	buffer_load_dword v32, v1, s[8:11], 0 idxen                // 0000000056B0: E0502000 80022001
	buffer_load_dword v33, v2, s[8:11], 0 idxen                // 0000000056B8: E0502000 80022102
	buffer_load_dword v34, v1, s[8:11], 0 idxen offset:128     // 0000000056C0: E0502080 80022201
	buffer_load_dword v35, v2, s[8:11], 0 idxen offset:128     // 0000000056C8: E0502080 80022302
	v_mov_b32_e32 v36, 0                                       // 0000000056D0: 7E480280
	s_mov_b64 exec, s[88:89]                                   // 0000000056D4: BEFE0158
	buffer_load_dword v36, v1, s[8:11], 0 idxen offset:256     // 0000000056D8: E0502100 80022401
	s_mov_b64 exec, s[86:87]                                   // 0000000056E0: BEFE0156
	v_mov_b32_e32 v37, 0                                       // 0000000056E4: 7E4A0280
	s_mov_b64 exec, s[88:89]                                   // 0000000056E8: BEFE0158
	buffer_load_dword v37, v2, s[8:11], 0 idxen offset:256     // 0000000056EC: E0502100 80022502
	s_mov_b64 exec, s[86:87]                                   // 0000000056F4: BEFE0156
	buffer_load_dword v44, v212, s[20:23], 0 idxen             // 0000000056F8: E0502000 80052CD4
	buffer_load_dword v45, v213, s[20:23], 0 idxen             // 000000005700: E0502000 80052DD5
	buffer_load_dword v46, v212, s[20:23], 0 idxen offset:128  // 000000005708: E0502080 80052ED4
	buffer_load_dword v47, v213, s[20:23], 0 idxen offset:128  // 000000005710: E0502080 80052FD5
	v_mov_b32_e32 v48, 0                                       // 000000005718: 7E600280
	s_mov_b64 exec, s[88:89]                                   // 00000000571C: BEFE0158
	buffer_load_dword v48, v212, s[20:23], 0 idxen offset:256  // 000000005720: E0502100 800530D4
	s_mov_b64 exec, s[86:87]                                   // 000000005728: BEFE0156
	v_mov_b32_e32 v49, 0                                       // 00000000572C: 7E620280
	s_mov_b64 exec, s[88:89]                                   // 000000005730: BEFE0158
	buffer_load_dword v49, v213, s[20:23], 0 idxen offset:256  // 000000005734: E0502100 800531D5
	s_mov_b64 exec, s[86:87]                                   // 00000000573C: BEFE0156
	buffer_load_dword v9, s[24:27], 0 idxen lds                // 000000005740: E0512000 80060009
	s_mov_b32 m0, s77                                          // 000000005748: BEFC004D
	v_add_u32_e32 v9, s69, v9                                  // 00000000574C: 68121245
	v_add_u32_e32 v1, s68, v1                                  // 000000005750: 68020244
	v_add_u32_e32 v2, s68, v2                                  // 000000005754: 68040444
	v_add_u32_e32 v212, s97, v212                              // 000000005758: 69A9A861
	v_add_u32_e32 v213, s97, v213                              // 00000000575C: 69ABAA61
	v_mul_f32_e32 v128, s48, v128                              // 000000005760: 0B010030
	v_perm_b32 v68, v39, v38, s63                              // 000000005764: D1ED0044 00FE4D27
	v_perm_b32 v69, v39, v38, s64                              // 00000000576C: D1ED0045 01024D27
	v_perm_b32 v70, v41, v40, s63                              // 000000005774: D1ED0046 00FE5129
	v_perm_b32 v71, v41, v40, s64                              // 00000000577C: D1ED0047 01025129
	v_perm_b32 v72, v43, v42, s63                              // 000000005784: D1ED0048 00FE552B
	v_perm_b32 v73, v43, v42, s64                              // 00000000578C: D1ED0049 0102552B
	v_perm_b32 v74, v51, v50, s63                              // 000000005794: D1ED004A 00FE6533
	v_perm_b32 v75, v51, v50, s64                              // 00000000579C: D1ED004B 01026533
	v_perm_b32 v76, v53, v52, s63                              // 0000000057A4: D1ED004C 00FE6935
	v_perm_b32 v77, v53, v52, s64                              // 0000000057AC: D1ED004D 01026935
	v_perm_b32 v78, v55, v54, s63                              // 0000000057B4: D1ED004E 00FE6D37
	v_perm_b32 v79, v55, v54, s64                              // 0000000057BC: D1ED004F 01026D37
	v_mov_b32_dpp v131, v128 quad_perm:[3,3,3,3] row_mask:0xf bank_mask:0xf// 0000000057C4: 7F0602FA FF00FF80
	v_mov_b32_dpp v130, v128 quad_perm:[2,2,2,2] row_mask:0xf bank_mask:0xf// 0000000057CC: 7F0402FA FF00AA80
	v_mov_b32_dpp v129, v128 quad_perm:[1,1,1,1] row_mask:0xf bank_mask:0xf// 0000000057D4: 7F0202FA FF005580
	v_mov_b32_dpp v128, v128 quad_perm:[0,0,0,0] row_mask:0xf bank_mask:0xf// 0000000057DC: 7F0002FA FF000080
	s_waitcnt vmcnt(13)                                        // 0000000057E4: BF8C0F7D
	s_barrier                                                  // 0000000057E8: BF8A0000
	s_cmp_lt_i32 s46, 2                                        // 0000000057EC: BF04822E
	s_cbranch_scc0 label_098F                                  // 0000000057F0: BF840392
	s_nop 0                                                    // 0000000057F4: BF800000
	s_nop 0                                                    // 0000000057F8: BF800000

00000000000057fc <label_05FF>:
	s_waitcnt lgkmcnt(0)                                       // 0000000057FC: BF8CC07F
	s_barrier                                                  // 000000005800: BF8A0000
	v_mfma_f32_16x16x16_bf16 v[56:59], a[72:73], a[0:1], 0     // 000000005804: D3E10038 1A020148
	ds_write_b32 v11, v50 offset:13056                         // 00000000580C: D81A3300 0000320B
	ds_write_b32 v11, v51 offset:14112                         // 000000005814: D81A3720 0000330B
	ds_write_b32 v11, v52 offset:15232                         // 00000000581C: D81A3B80 0000340B
	v_mfma_f32_16x16x16_bf16 v[56:59], a[74:75], a[2:3], v[56:59]// 000000005824: D3E10038 1CE2054A
	v_mul_f32_e32 v132, s47, v132                              // 00000000582C: 0B09082F
	v_mul_f32_e32 v133, s47, v133                              // 000000005830: 0B0B0A2F
	v_mul_f32_e32 v134, s47, v134                              // 000000005834: 0B0D0C2F
	v_mul_f32_e32 v135, s47, v135                              // 000000005838: 0B0F0E2F
	v_mfma_f32_16x16x16_bf16 v[56:59], a[76:77], a[4:5], v[56:59]// 00000000583C: D3E10038 1CE2094C
	ds_write_b32 v11, v53 offset:16288                         // 000000005844: D81A3FA0 0000350B
	ds_write_b32 v11, v54 offset:17408                         // 00000000584C: D81A4400 0000360B
	ds_write_b32 v11, v55 offset:18464                         // 000000005854: D81A4820 0000370B
	v_mfma_f32_16x16x16_bf16 v[56:59], a[78:79], a[6:7], v[56:59]// 00000000585C: D3E10038 1CE20D4E
	v_mul_f32_e32 v136, s47, v136                              // 000000005864: 0B11102F
	v_mul_f32_e32 v137, s47, v137                              // 000000005868: 0B13122F
	v_mul_f32_e32 v138, s47, v138                              // 00000000586C: 0B15142F
	v_mul_f32_e32 v139, s47, v139                              // 000000005870: 0B17162F
	v_mfma_f32_16x16x16_bf16 v[56:59], a[80:81], a[8:9], v[56:59]// 000000005874: D3E10038 1CE21150
	ds_write_b64 v20, v[132:133] offset:28416                  // 00000000587C: D89A6F00 00008414
	ds_write_b64 v20, v[134:135] offset:28928                  // 000000005884: D89A7100 00008614
	v_mfma_f32_16x16x16_bf16 v[56:59], a[82:83], a[10:11], v[56:59]// 00000000588C: D3E10038 1CE21552
	v_mul_f32_e32 v140, s47, v140                              // 000000005894: 0B19182F
	v_mul_f32_e32 v141, s47, v141                              // 000000005898: 0B1B1A2F
	v_mul_f32_e32 v142, s47, v142                              // 00000000589C: 0B1D1C2F
	v_mul_f32_e32 v143, s47, v143                              // 0000000058A0: 0B1F1E2F
	v_mfma_f32_16x16x16_bf16 v[56:59], a[84:85], a[12:13], v[56:59]// 0000000058A4: D3E10038 1CE21954
	ds_write_b64 v20, v[136:137] offset:29440                  // 0000000058AC: D89A7300 00008814
	ds_write_b64 v20, v[138:139] offset:29952                  // 0000000058B4: D89A7500 00008A14
	v_mfma_f32_16x16x16_bf16 v[56:59], a[86:87], a[14:15], v[56:59]// 0000000058BC: D3E10038 1CE21D56
	ds_write_b64 v20, v[140:141] offset:30464                  // 0000000058C4: D89A7700 00008C14
	ds_write_b64 v20, v[142:143] offset:30976                  // 0000000058CC: D89A7900 00008E14
	v_mfma_f32_16x16x16_bf16 v[56:59], a[88:89], a[16:17], v[56:59]// 0000000058D4: D3E10038 1CE22158
	ds_read_b128 v[104:107], v12 offset:19584                  // 0000000058DC: D9FE4C80 6800000C
	v_mfma_f32_16x16x16_bf16 v[56:59], a[90:91], a[18:19], v[56:59]// 0000000058E4: D3E10038 1CE2255A
	ds_read_b128 v[108:111], v12 offset:20096                  // 0000000058EC: D9FE4E80 6C00000C
	v_mfma_f32_16x16x16_bf16 v[56:59], a[92:93], a[20:21], v[56:59]// 0000000058F4: D3E10038 1CE2295C
	ds_read_b128 v[112:115], v12 offset:21760                  // 0000000058FC: D9FE5500 7000000C
	ds_read_b128 v[116:119], v12 offset:22272                  // 000000005904: D9FE5700 7400000C
	v_mfma_f32_16x16x16_bf16 v[56:59], a[94:95], a[22:23], v[56:59]// 00000000590C: D3E10038 1CE22D5E
	ds_read_b128 v[120:123], v12 offset:23936                  // 000000005914: D9FE5D80 7800000C
	ds_read_b128 v[124:127], v12 offset:24448                  // 00000000591C: D9FE5F80 7C00000C
	s_cmp_lt_i32 s99, 64                                       // 000000005924: BF04C063
	s_cbranch_scc0 label_065A                                  // 000000005928: BF84000F
	v_and_b32_e32 v28, 15, v0                                  // 00000000592C: 2638008F
	v_mul_i32_i24_e64 v29, s46, 16                             // 000000005930: D106001D 0001202E
	v_add_u32_e32 v28, v28, v29                                // 000000005938: 68383B1C
	v_cmp_lt_u32_e64 s[60:61], v28, s99                        // 00000000593C: D0C9003C 0000C71C
	s_nop 1                                                    // 000000005944: BF800001
	v_cndmask_b32_e64 v56, v159, v56, s[60:61]                 // 000000005948: D1000038 00F2719F
	v_cndmask_b32_e64 v57, v159, v57, s[60:61]                 // 000000005950: D1000039 00F2739F
	v_cndmask_b32_e64 v58, v159, v58, s[60:61]                 // 000000005958: D100003A 00F2759F
	v_cndmask_b32_e64 v59, v159, v59, s[60:61]                 // 000000005960: D100003B 00F2779F

0000000000005968 <label_065A>:
	s_waitcnt lgkmcnt(6)                                       // 000000005968: BF8CC67F
	s_barrier                                                  // 00000000596C: BF8A0000
	v_mfma_f32_16x16x16_bf16 v[64:67], v[80:81], a[48:49], 0   // 000000005970: D3E10040 12026150
	ds_read_b128 a[72:75], v12 offset:6528                     // 000000005978: DBFE1980 4800000C
	ds_read_b128 a[76:79], v12 offset:7040                     // 000000005980: DBFE1B80 4C00000C
	ds_write_b32 v11, v38                                      // 000000005988: D81A0000 0000260B
	ds_write_b32 v11, v39 offset:1056                          // 000000005990: D81A0420 0000270B
	v_mfma_f32_16x16x16_bf16 v[64:67], v[82:83], a[50:51], v[64:67]// 000000005998: D3E10040 15026552
	v_fma_f32 v56, v56, s57, -v128                             // 0000000059A0: D1CB0038 86007338
	v_fma_f32 v57, v57, s57, -v129                             // 0000000059A8: D1CB0039 86047339
	v_fma_f32 v58, v58, s57, -v130                             // 0000000059B0: D1CB003A 8608733A
	v_fma_f32 v59, v59, s57, -v131                             // 0000000059B8: D1CB003B 860C733B
	v_mfma_f32_16x16x16_bf16 v[64:67], v[84:85], a[52:53], v[64:67]// 0000000059C0: D3E10040 15026954
	ds_read_b128 a[80:83], v12 offset:8704                     // 0000000059C8: DBFE2200 5000000C
	ds_read_b128 a[84:87], v12 offset:9216                     // 0000000059D0: DBFE2400 5400000C
	ds_write_b32 v11, v40 offset:2176                          // 0000000059D8: D81A0880 0000280B
	v_mfma_f32_16x16x16_bf16 v[64:67], v[86:87], a[54:55], v[64:67]// 0000000059E0: D3E10040 15026D56
	v_exp_f32_e32 v56, v56                                     // 0000000059E8: 7E704138
	v_mfma_f32_16x16x16_bf16 v[64:67], v[88:89], a[56:57], v[64:67]// 0000000059EC: D3E10040 15027158
	ds_read_b128 a[88:91], v12 offset:10880                    // 0000000059F4: DBFE2A80 5800000C
	ds_read_b128 a[92:95], v12 offset:11392                    // 0000000059FC: DBFE2C80 5C00000C
	ds_write_b32 v11, v41 offset:3232                          // 000000005A04: D81A0CA0 0000290B
	v_mfma_f32_16x16x16_bf16 v[64:67], v[90:91], a[58:59], v[64:67]// 000000005A0C: D3E10040 1502755A
	v_exp_f32_e32 v57, v57                                     // 000000005A14: 7E724139
	v_mfma_f32_16x16x16_bf16 v[64:67], v[92:93], a[60:61], v[64:67]// 000000005A18: D3E10040 1502795C
	ds_read_b64 v[144:145], v19 offset:28416                   // 000000005A20: D8EC6F00 90000013
	ds_read_b64 v[146:147], v19 offset:30464                   // 000000005A28: D8EC7700 92000013
	ds_read_b64 v[148:149], v19 offset:32512                   // 000000005A30: D8EC7F00 94000013
	ds_write_b32 v11, v42 offset:4352                          // 000000005A38: D81A1100 00002A0B
	v_mfma_f32_16x16x16_bf16 v[64:67], v[94:95], a[62:63], v[64:67]// 000000005A40: D3E10040 15027D5E
	v_exp_f32_e32 v58, v58                                     // 000000005A48: 7E74413A
	v_mfma_f32_16x16x16_bf16 v[64:67], v[96:97], a[64:65], v[64:67]// 000000005A4C: D3E10040 15028160
	ds_read_b64 v[150:151], v19 offset:34560                   // 000000005A54: D8EC8700 96000013
	ds_read_b64 v[152:153], v19 offset:36608                   // 000000005A5C: D8EC8F00 98000013
	ds_read_b64 v[154:155], v19 offset:38656                   // 000000005A64: D8EC9700 9A000013
	ds_write_b32 v11, v43 offset:5408                          // 000000005A6C: D81A1520 00002B0B
	v_mfma_f32_16x16x16_bf16 v[64:67], v[98:99], a[66:67], v[64:67]// 000000005A74: D3E10040 15028562
	v_exp_f32_e32 v59, v59                                     // 000000005A7C: 7E76413B
	v_mfma_f32_16x16x16_bf16 v[64:67], v[100:101], a[68:69], v[64:67]// 000000005A80: D3E10040 15028964
	v_perm_b32 v156, v57, v56, s64                             // 000000005A88: D1ED009C 01027139
	v_mfma_f32_16x16x16_bf16 v[64:67], v[102:103], a[70:71], v[64:67]// 000000005A90: D3E10040 15028D66
	v_perm_b32 v157, v59, v58, s64                             // 000000005A98: D1ED009D 0102753B
	v_add_u32_e32 v7, s66, v7                                  // 000000005AA0: 680E0E42
	v_add_u32_e32 v8, s66, v8                                  // 000000005AA4: 68101042
	s_waitcnt lgkmcnt(0)                                       // 000000005AA8: BF8CC07F
	s_barrier                                                  // 000000005AAC: BF8A0000
	v_mfma_f32_16x16x16_bf16 v[160:163], v[104:105], v[156:157], v[160:163]// 000000005AB0: D3E100A0 06833968
	v_subrev_f32_dpp v64, v158, v64 quad_perm:[0,0,0,0] row_mask:0xf bank_mask:0xf// 000000005AB8: 068080FA FF00009E
	v_subrev_f32_dpp v65, v158, v65 quad_perm:[1,1,1,1] row_mask:0xf bank_mask:0xf// 000000005AC0: 068282FA FF00559E
	buffer_atomic_add_f32 v144, v7, s[32:35], 0 offen          // 000000005AC8: E1341000 80089007
	v_mfma_f32_16x16x16_bf16 v[164:167], v[106:107], v[156:157], v[164:167]// 000000005AD0: D3E100A4 0693396A
	v_subrev_f32_dpp v66, v158, v66 quad_perm:[2,2,2,2] row_mask:0xf bank_mask:0xf// 000000005AD8: 068484FA FF00AA9E
	v_subrev_f32_dpp v67, v158, v67 quad_perm:[3,3,3,3] row_mask:0xf bank_mask:0xf// 000000005AE0: 068686FA FF00FF9E
	buffer_atomic_add_f32 v145, v8, s[32:35], 0 offen          // 000000005AE8: E1341000 80089108
	v_mfma_f32_16x16x16_bf16 v[168:171], v[108:109], v[156:157], v[168:171]// 000000005AF0: D3E100A8 06A3396C
	v_mul_f32_e32 v64, v56, v64                                // 000000005AF8: 0A808138
	v_mul_f32_e32 v65, v57, v65                                // 000000005AFC: 0A828339
	buffer_atomic_add_f32 v146, v7, s[32:35], 0 offen offset:128// 000000005B00: E1341080 80089207
	v_mfma_f32_16x16x16_bf16 v[172:175], v[110:111], v[156:157], v[172:175]// 000000005B08: D3E100AC 06B3396E
	v_mul_f32_e32 v66, v58, v66                                // 000000005B10: 0A84853A
	v_mul_f32_e32 v67, v59, v67                                // 000000005B14: 0A86873B
	buffer_atomic_add_f32 v147, v8, s[32:35], 0 offen offset:128// 000000005B18: E1341080 80089308
	v_mfma_f32_16x16x16_bf16 v[176:179], v[112:113], v[156:157], v[176:179]// 000000005B20: D3E100B0 06C33970
	v_perm_b32 v64, v65, v64, s64                              // 000000005B28: D1ED0040 01028141
	v_mfma_f32_16x16x16_bf16 v[180:183], v[114:115], v[156:157], v[180:183]// 000000005B30: D3E100B4 06D33972
	v_perm_b32 v65, v67, v66, s64                              // 000000005B38: D1ED0041 01028543
	v_mfma_f32_16x16x16_bf16 v[184:187], v[116:117], v[156:157], v[184:187]// 000000005B40: D3E100B8 06E33974
	v_mov_b32_dpp v16, v64 quad_perm:[1,0,3,2] row_mask:0xf bank_mask:0xf// 000000005B48: 7E2002FA FF00B140
	v_perm_b32 v56, v16, v64, v15                              // 000000005B50: D1ED0038 043E8110
	buffer_atomic_add_f32 v148, v7, s[32:35], 0 offen offset:256// 000000005B58: E1341100 80089407
	v_mfma_f32_16x16x16_bf16 v[188:191], v[118:119], v[156:157], v[188:191]// 000000005B60: D3E100BC 06F33976
	v_mov_b32_dpp v16, v65 quad_perm:[1,0,3,2] row_mask:0xf bank_mask:0xf// 000000005B68: 7E2002FA FF00B141
	v_perm_b32 v57, v16, v65, v15                              // 000000005B70: D1ED0039 043E8310
	buffer_atomic_add_f32 v149, v8, s[32:35], 0 offen offset:256// 000000005B78: E1341100 80089508
	v_mfma_f32_16x16x16_bf16 v[192:195], v[120:121], v[156:157], v[192:195]// 000000005B80: D3E100C0 07033978
	ds_write_b32 v13, v68 offset:6528                          // 000000005B88: D81A1980 0000440D
	ds_write_b32 v13, v69 offset:7584                          // 000000005B90: D81A1DA0 0000450D
	v_mfma_f32_16x16x16_bf16 v[196:199], v[122:123], v[156:157], v[196:199]// 000000005B98: D3E100C4 0713397A
	ds_write_b32 v18, v56 offset:26112                         // 000000005BA0: D81A6600 00003812
	ds_write_b32 v18, v57 offset:26656                         // 000000005BA8: D81A6820 00003912
	v_mfma_f32_16x16x16_bf16 v[200:203], v[124:125], v[156:157], v[200:203]// 000000005BB0: D3E100C8 0723397C
	ds_write_b32 v13, v70 offset:8704                          // 000000005BB8: D81A2200 0000460D
	ds_write_b32 v13, v71 offset:9760                          // 000000005BC0: D81A2620 0000470D
	v_mfma_f32_16x16x16_bf16 v[204:207], v[126:127], v[156:157], v[204:207]// 000000005BC8: D3E100CC 0733397E
	ds_write_b32 v13, v72 offset:10880                         // 000000005BD0: D81A2A80 0000480D
	ds_write_b32 v13, v73 offset:11936                         // 000000005BD8: D81A2EA0 0000490D
	s_barrier                                                  // 000000005BE0: BF8A0000
	v_mfma_f32_16x16x16_bf16 a[96:99], a[72:73], v[64:65], a[96:99]// 000000005BE4: D3E18060 0D828148
	buffer_atomic_add_f32 v150, v7, s[32:35], 0 offen offset:384// 000000005BEC: E1341180 80089607
	buffer_atomic_add_f32 v151, v8, s[32:35], 0 offen offset:384// 000000005BF4: E1341180 80089708
	v_mfma_f32_16x16x16_bf16 a[100:103], a[74:75], v[64:65], a[100:103]// 000000005BFC: D3E18064 0D92814A
	ds_read_b32 v128, v21 offset:41216                         // 000000005C04: D86CA100 80000015
	ds_read_b32 v158, v21 offset:41472                         // 000000005C0C: D86CA200 9E000015
	v_mfma_f32_16x16x16_bf16 a[104:107], a[76:77], v[64:65], a[104:107]// 000000005C14: D3E18068 0DA2814C
	s_waitcnt lgkmcnt(6)                                       // 000000005C1C: BF8CC67F
	s_barrier                                                  // 000000005C20: BF8A0000
	v_mfma_f32_16x16x16_bf16 a[108:111], a[78:79], v[64:65], a[108:111]// 000000005C24: D3E1806C 0DB2814E
	ds_read_b128 v[56:59], v17 offset:26112                    // 000000005C2C: D9FE6600 38000011
	v_mfma_f32_16x16x16_bf16 a[112:115], a[80:81], v[64:65], a[112:115]// 000000005C34: D3E18070 0DC28150
	s_mov_b64 exec, s[92:93]                                   // 000000005C3C: BEFE015C
	buffer_atomic_add_f32 v152, v7, s[32:35], 0 offen offset:512// 000000005C40: E1341200 80089807
	s_mov_b64 exec, s[86:87]                                   // 000000005C48: BEFE0156
	v_mfma_f32_16x16x16_bf16 a[116:119], a[82:83], v[64:65], a[116:119]// 000000005C4C: D3E18074 0DD28152
	ds_read_b128 v[60:63], v17 offset:27264                    // 000000005C54: D9FE6A80 3C000011
	v_mfma_f32_16x16x16_bf16 a[120:123], a[84:85], v[64:65], a[120:123]// 000000005C5C: D3E18078 0DE28154
	s_mov_b64 exec, s[92:93]                                   // 000000005C64: BEFE015C
	buffer_atomic_add_f32 v153, v8, s[32:35], 0 offen offset:512// 000000005C68: E1341200 80089908
	s_mov_b64 exec, s[86:87]                                   // 000000005C70: BEFE0156
	v_mfma_f32_16x16x16_bf16 a[124:127], a[86:87], v[64:65], a[124:127]// 000000005C74: D3E1807C 0DF28156
	ds_write_b32 v13, v74 offset:19584                         // 000000005C7C: D81A4C80 00004A0D
	ds_write_b32 v13, v75 offset:20640                         // 000000005C84: D81A50A0 00004B0D
	v_mfma_f32_16x16x16_bf16 a[128:131], a[88:89], v[64:65], a[128:131]// 000000005C8C: D3E18080 0E028158
	s_mov_b64 exec, s[94:95]                                   // 000000005C94: BEFE015E
	buffer_atomic_add_f32 v154, v7, s[32:35], 0 offen offset:640// 000000005C98: E1341280 80089A07
	s_mov_b64 exec, s[86:87]                                   // 000000005CA0: BEFE0156
	v_mfma_f32_16x16x16_bf16 a[132:135], a[90:91], v[64:65], a[132:135]// 000000005CA4: D3E18084 0E12815A
	ds_write_b32 v13, v76 offset:21760                         // 000000005CAC: D81A5500 00004C0D
	ds_write_b32 v13, v77 offset:22816                         // 000000005CB4: D81A5920 00004D0D
	v_mfma_f32_16x16x16_bf16 a[136:139], a[92:93], v[64:65], a[136:139]// 000000005CBC: D3E18088 0E22815C
	s_mov_b64 exec, s[94:95]                                   // 000000005CC4: BEFE015E
	buffer_atomic_add_f32 v155, v8, s[32:35], 0 offen offset:640// 000000005CC8: E1341280 80089B08
	s_mov_b64 exec, s[86:87]                                   // 000000005CD0: BEFE0156
	v_mfma_f32_16x16x16_bf16 a[140:143], a[94:95], v[64:65], a[140:143]// 000000005CD4: D3E1808C 0E32815E
	ds_write_b32 v13, v78 offset:23936                         // 000000005CDC: D81A5D80 00004E0D
	ds_write_b32 v13, v79 offset:24992                         // 000000005CE4: D81A61A0 00004F0D
	s_waitcnt vmcnt(12) lgkmcnt(6)                             // 000000005CEC: BF8C067C
	s_barrier                                                  // 000000005CF0: BF8A0000
	v_mfma_f32_16x16x16_bf16 v[132:135], v[56:57], a[24:25], 0 // 000000005CF4: D3E10084 12023138
	v_mul_f32_e32 v128, s48, v128                              // 000000005CFC: 0B010030
	v_perm_b32 v68, v33, v32, s63                              // 000000005D00: D1ED0044 00FE4121
	v_perm_b32 v69, v33, v32, s64                              // 000000005D08: D1ED0045 01024121
	v_perm_b32 v70, v35, v34, s63                              // 000000005D10: D1ED0046 00FE4523
	v_mfma_f32_16x16x16_bf16 v[132:135], v[58:59], a[30:31], v[132:135]// 000000005D18: D3E10084 16123D3A
	ds_read_b128 a[72:75], v10                                 // 000000005D20: DBFE0000 4800000A
	ds_read_b128 a[76:79], v10 offset:512                      // 000000005D28: DBFE0200 4C00000A
	ds_read_b128 a[80:83], v10 offset:2176                     // 000000005D30: DBFE0880 5000000A
	buffer_load_dword v38, v1, s[8:11], 0 idxen                // 000000005D38: E0502000 80022601
	buffer_load_dword v39, v2, s[8:11], 0 idxen                // 000000005D40: E0502000 80022702
	v_mfma_f32_16x16x16_bf16 v[132:135], v[60:61], a[36:37], v[132:135]// 000000005D48: D3E10084 1612493C
	v_perm_b32 v71, v35, v34, s64                              // 000000005D50: D1ED0047 01024523
	v_perm_b32 v72, v37, v36, s63                              // 000000005D58: D1ED0048 00FE4925
	v_perm_b32 v73, v37, v36, s64                              // 000000005D60: D1ED0049 01024925
	v_mfma_f32_16x16x16_bf16 v[132:135], v[62:63], a[42:43], v[132:135]// 000000005D68: D3E10084 1612553E
	ds_read_b128 a[84:87], v10 offset:2688                     // 000000005D70: DBFE0A80 5400000A
	ds_read_b128 a[88:91], v10 offset:4352                     // 000000005D78: DBFE1100 5800000A
	ds_read_b128 a[92:95], v10 offset:4864                     // 000000005D80: DBFE1300 5C00000A
	buffer_load_dword v40, v1, s[8:11], 0 idxen offset:128     // 000000005D88: E0502080 80022801
	buffer_load_dword v41, v2, s[8:11], 0 idxen offset:128     // 000000005D90: E0502080 80022902
	v_mfma_f32_16x16x16_bf16 v[136:139], v[56:57], a[26:27], 0 // 000000005D98: D3E10088 12023538
	v_perm_b32 v74, v45, v44, s63                              // 000000005DA0: D1ED004A 00FE592D
	v_perm_b32 v75, v45, v44, s64                              // 000000005DA8: D1ED004B 0102592D
	v_perm_b32 v76, v47, v46, s63                              // 000000005DB0: D1ED004C 00FE5D2F
	v_mov_b32_dpp v131, v128 quad_perm:[3,3,3,3] row_mask:0xf bank_mask:0xf// 000000005DB8: 7F0602FA FF00FF80
	v_mov_b32_dpp v130, v128 quad_perm:[2,2,2,2] row_mask:0xf bank_mask:0xf// 000000005DC0: 7F0402FA FF00AA80
	v_mfma_f32_16x16x16_bf16 v[136:139], v[58:59], a[32:33], v[136:139]// 000000005DC8: D3E10088 1622413A
	ds_read_b128 v[80:83], v10 offset:13056                    // 000000005DD0: D9FE3300 5000000A
	ds_read_b128 v[84:87], v10 offset:13568                    // 000000005DD8: D9FE3500 5400000A
	ds_read_b128 v[88:91], v10 offset:15232                    // 000000005DE0: D9FE3B80 5800000A
	buffer_load_dword v50, v212, s[20:23], 0 idxen             // 000000005DE8: E0502000 800532D4
	buffer_load_dword v51, v213, s[20:23], 0 idxen             // 000000005DF0: E0502000 800533D5
	v_mfma_f32_16x16x16_bf16 v[136:139], v[60:61], a[38:39], v[136:139]// 000000005DF8: D3E10088 16224D3C
	v_perm_b32 v77, v47, v46, s64                              // 000000005E00: D1ED004D 01025D2F
	v_perm_b32 v78, v49, v48, s63                              // 000000005E08: D1ED004E 00FE6131
	v_perm_b32 v79, v49, v48, s64                              // 000000005E10: D1ED004F 01026131
	v_mov_b32_dpp v129, v128 quad_perm:[1,1,1,1] row_mask:0xf bank_mask:0xf// 000000005E18: 7F0202FA FF005580
	v_mov_b32_dpp v128, v128 quad_perm:[0,0,0,0] row_mask:0xf bank_mask:0xf// 000000005E20: 7F0002FA FF000080
	v_mfma_f32_16x16x16_bf16 v[136:139], v[62:63], a[44:45], v[136:139]// 000000005E28: D3E10088 1622593E
	ds_read_b128 v[92:95], v10 offset:15744                    // 000000005E30: D9FE3D80 5C00000A
	ds_read_b128 v[96:99], v10 offset:17408                    // 000000005E38: D9FE4400 6000000A
	ds_read_b128 v[100:103], v10 offset:17920                  // 000000005E40: D9FE4600 6400000A
	buffer_load_dword v52, v212, s[20:23], 0 idxen offset:128  // 000000005E48: E0502080 800534D4
	buffer_load_dword v53, v213, s[20:23], 0 idxen offset:128  // 000000005E50: E0502080 800535D5
	v_mfma_f32_16x16x16_bf16 v[140:143], v[56:57], a[28:29], 0 // 000000005E58: D3E1008C 12023938
	s_add_u32 s60, 64, s59                                     // 000000005E60: 803C3BC0
	s_cmp_lt_u32 s60, s58                                      // 000000005E64: BF0A3A3C
	s_cselect_b32 s68, s68, 0                                  // 000000005E68: 85448044
	s_cselect_b32 s97, s97, 0                                  // 000000005E6C: 85618061
	s_cselect_b32 s69, s69, 0                                  // 000000005E70: 85458045
	v_mfma_f32_16x16x16_bf16 v[140:143], v[58:59], a[34:35], v[140:143]// 000000005E74: D3E1008C 1632453A
	buffer_load_dword v9, s[24:27], 0 idxen lds                // 000000005E7C: E0512000 80060009
	v_mov_b32_e32 v42, 0                                       // 000000005E84: 7E540280
	s_mov_b64 exec, s[88:89]                                   // 000000005E88: BEFE0158
	buffer_load_dword v42, v1, s[8:11], 0 idxen offset:256     // 000000005E8C: E0502100 80022A01
	s_mov_b64 exec, s[86:87]                                   // 000000005E94: BEFE0156
	v_mov_b32_e32 v43, 0                                       // 000000005E98: 7E560280
	s_mov_b64 exec, s[88:89]                                   // 000000005E9C: BEFE0158
	buffer_load_dword v43, v2, s[8:11], 0 idxen offset:256     // 000000005EA0: E0502100 80022B02
	s_mov_b64 exec, s[86:87]                                   // 000000005EA8: BEFE0156
	v_mfma_f32_16x16x16_bf16 v[140:143], v[60:61], a[40:41], v[140:143]// 000000005EAC: D3E1008C 1632513C
	v_mov_b32_e32 v54, 0                                       // 000000005EB4: 7E6C0280
	s_mov_b64 exec, s[88:89]                                   // 000000005EB8: BEFE0158
	buffer_load_dword v54, v212, s[20:23], 0 idxen offset:256  // 000000005EBC: E0502100 800536D4
	s_mov_b64 exec, s[86:87]                                   // 000000005EC4: BEFE0156
	v_mov_b32_e32 v55, 0                                       // 000000005EC8: 7E6E0280
	s_mov_b64 exec, s[88:89]                                   // 000000005ECC: BEFE0158
	buffer_load_dword v55, v213, s[20:23], 0 idxen offset:256  // 000000005ED0: E0502100 800537D5
	s_mov_b64 exec, s[86:87]                                   // 000000005ED8: BEFE0156
	v_add_u32_e32 v1, s68, v1                                  // 000000005EDC: 68020244
	v_add_u32_e32 v2, s68, v2                                  // 000000005EE0: 68040444
	v_add_u32_e32 v212, s97, v212                              // 000000005EE4: 69A9A861
	v_add_u32_e32 v213, s97, v213                              // 000000005EE8: 69ABAA61
	s_mov_b32 m0, s76                                          // 000000005EEC: BEFC004C
	v_add_u32_e32 v9, s69, v9                                  // 000000005EF0: 68121245
	v_mfma_f32_16x16x16_bf16 v[140:143], v[62:63], a[46:47], v[140:143]// 000000005EF4: D3E1008C 16325D3E
	s_cmp_ge_u32 s59, 16                                       // 000000005EFC: BF09903B
	s_cselect_b32 s66, s67, s66                                // 000000005F00: 85424243
	s_addk_i32 s59, 0x10                                       // 000000005F04: B73B0010
	s_nop 0                                                    // 000000005F08: BF800000
	s_cmp_lt_i32 s59, s58                                      // 000000005F0C: BF043A3B
	s_cbranch_scc0 label_098C                                  // 000000005F10: BF8401C7
	s_waitcnt lgkmcnt(0)                                       // 000000005F14: BF8CC07F
	s_barrier                                                  // 000000005F18: BF8A0000
	v_mfma_f32_16x16x16_bf16 v[56:59], a[72:73], a[0:1], 0     // 000000005F1C: D3E10038 1A020148
	ds_write_b32 v11, v44 offset:13056                         // 000000005F24: D81A3300 00002C0B
	ds_write_b32 v11, v45 offset:14112                         // 000000005F2C: D81A3720 00002D0B
	ds_write_b32 v11, v46 offset:15232                         // 000000005F34: D81A3B80 00002E0B
	v_mfma_f32_16x16x16_bf16 v[56:59], a[74:75], a[2:3], v[56:59]// 000000005F3C: D3E10038 1CE2054A
	v_mul_f32_e32 v132, s47, v132                              // 000000005F44: 0B09082F
	v_mul_f32_e32 v133, s47, v133                              // 000000005F48: 0B0B0A2F
	v_mul_f32_e32 v134, s47, v134                              // 000000005F4C: 0B0D0C2F
	v_mul_f32_e32 v135, s47, v135                              // 000000005F50: 0B0F0E2F
	v_mfma_f32_16x16x16_bf16 v[56:59], a[76:77], a[4:5], v[56:59]// 000000005F54: D3E10038 1CE2094C
	ds_write_b32 v11, v47 offset:16288                         // 000000005F5C: D81A3FA0 00002F0B
	ds_write_b32 v11, v48 offset:17408                         // 000000005F64: D81A4400 0000300B
	ds_write_b32 v11, v49 offset:18464                         // 000000005F6C: D81A4820 0000310B
	v_mfma_f32_16x16x16_bf16 v[56:59], a[78:79], a[6:7], v[56:59]// 000000005F74: D3E10038 1CE20D4E
	v_mul_f32_e32 v136, s47, v136                              // 000000005F7C: 0B11102F
	v_mul_f32_e32 v137, s47, v137                              // 000000005F80: 0B13122F
	v_mul_f32_e32 v138, s47, v138                              // 000000005F84: 0B15142F
	v_mul_f32_e32 v139, s47, v139                              // 000000005F88: 0B17162F
	v_mfma_f32_16x16x16_bf16 v[56:59], a[80:81], a[8:9], v[56:59]// 000000005F8C: D3E10038 1CE21150
	ds_write_b64 v20, v[132:133] offset:28416                  // 000000005F94: D89A6F00 00008414
	ds_write_b64 v20, v[134:135] offset:28928                  // 000000005F9C: D89A7100 00008614
	v_mfma_f32_16x16x16_bf16 v[56:59], a[82:83], a[10:11], v[56:59]// 000000005FA4: D3E10038 1CE21552
	v_mul_f32_e32 v140, s47, v140                              // 000000005FAC: 0B19182F
	v_mul_f32_e32 v141, s47, v141                              // 000000005FB0: 0B1B1A2F
	v_mul_f32_e32 v142, s47, v142                              // 000000005FB4: 0B1D1C2F
	v_mul_f32_e32 v143, s47, v143                              // 000000005FB8: 0B1F1E2F
	v_mfma_f32_16x16x16_bf16 v[56:59], a[84:85], a[12:13], v[56:59]// 000000005FBC: D3E10038 1CE21954
	ds_write_b64 v20, v[136:137] offset:29440                  // 000000005FC4: D89A7300 00008814
	ds_write_b64 v20, v[138:139] offset:29952                  // 000000005FCC: D89A7500 00008A14
	v_mfma_f32_16x16x16_bf16 v[56:59], a[86:87], a[14:15], v[56:59]// 000000005FD4: D3E10038 1CE21D56
	ds_write_b64 v20, v[140:141] offset:30464                  // 000000005FDC: D89A7700 00008C14
	ds_write_b64 v20, v[142:143] offset:30976                  // 000000005FE4: D89A7900 00008E14
	v_mfma_f32_16x16x16_bf16 v[56:59], a[88:89], a[16:17], v[56:59]// 000000005FEC: D3E10038 1CE22158
	ds_read_b128 v[104:107], v12 offset:19584                  // 000000005FF4: D9FE4C80 6800000C
	v_mfma_f32_16x16x16_bf16 v[56:59], a[90:91], a[18:19], v[56:59]// 000000005FFC: D3E10038 1CE2255A
	ds_read_b128 v[108:111], v12 offset:20096                  // 000000006004: D9FE4E80 6C00000C
	v_mfma_f32_16x16x16_bf16 v[56:59], a[92:93], a[20:21], v[56:59]// 00000000600C: D3E10038 1CE2295C
	ds_read_b128 v[112:115], v12 offset:21760                  // 000000006014: D9FE5500 7000000C
	ds_read_b128 v[116:119], v12 offset:22272                  // 00000000601C: D9FE5700 7400000C
	v_mfma_f32_16x16x16_bf16 v[56:59], a[94:95], a[22:23], v[56:59]// 000000006024: D3E10038 1CE22D5E
	ds_read_b128 v[120:123], v12 offset:23936                  // 00000000602C: D9FE5D80 7800000C
	ds_read_b128 v[124:127], v12 offset:24448                  // 000000006034: D9FE5F80 7C00000C
	s_cmp_lt_i32 s99, 64                                       // 00000000603C: BF04C063
	s_cbranch_scc0 label_0820                                  // 000000006040: BF84000F
	v_and_b32_e32 v28, 15, v0                                  // 000000006044: 2638008F
	v_mul_i32_i24_e64 v29, s46, 16                             // 000000006048: D106001D 0001202E
	v_add_u32_e32 v28, v28, v29                                // 000000006050: 68383B1C
	v_cmp_lt_u32_e64 s[60:61], v28, s99                        // 000000006054: D0C9003C 0000C71C
	s_nop 1                                                    // 00000000605C: BF800001
	v_cndmask_b32_e64 v56, v159, v56, s[60:61]                 // 000000006060: D1000038 00F2719F
	v_cndmask_b32_e64 v57, v159, v57, s[60:61]                 // 000000006068: D1000039 00F2739F
	v_cndmask_b32_e64 v58, v159, v58, s[60:61]                 // 000000006070: D100003A 00F2759F
	v_cndmask_b32_e64 v59, v159, v59, s[60:61]                 // 000000006078: D100003B 00F2779F

0000000000006080 <label_0820>:
	s_waitcnt lgkmcnt(6)                                       // 000000006080: BF8CC67F
	s_barrier                                                  // 000000006084: BF8A0000
	v_mfma_f32_16x16x16_bf16 v[64:67], v[80:81], a[48:49], 0   // 000000006088: D3E10040 12026150
	ds_read_b128 a[72:75], v12 offset:6528                     // 000000006090: DBFE1980 4800000C
	ds_read_b128 a[76:79], v12 offset:7040                     // 000000006098: DBFE1B80 4C00000C
	ds_write_b32 v11, v32                                      // 0000000060A0: D81A0000 0000200B
	ds_write_b32 v11, v33 offset:1056                          // 0000000060A8: D81A0420 0000210B
	v_mfma_f32_16x16x16_bf16 v[64:67], v[82:83], a[50:51], v[64:67]// 0000000060B0: D3E10040 15026552
	v_fma_f32 v56, v56, s57, -v128                             // 0000000060B8: D1CB0038 86007338
	v_fma_f32 v57, v57, s57, -v129                             // 0000000060C0: D1CB0039 86047339
	v_fma_f32 v58, v58, s57, -v130                             // 0000000060C8: D1CB003A 8608733A
	v_fma_f32 v59, v59, s57, -v131                             // 0000000060D0: D1CB003B 860C733B
	v_mfma_f32_16x16x16_bf16 v[64:67], v[84:85], a[52:53], v[64:67]// 0000000060D8: D3E10040 15026954
	ds_read_b128 a[80:83], v12 offset:8704                     // 0000000060E0: DBFE2200 5000000C
	ds_read_b128 a[84:87], v12 offset:9216                     // 0000000060E8: DBFE2400 5400000C
	ds_write_b32 v11, v34 offset:2176                          // 0000000060F0: D81A0880 0000220B
	v_mfma_f32_16x16x16_bf16 v[64:67], v[86:87], a[54:55], v[64:67]// 0000000060F8: D3E10040 15026D56
	v_exp_f32_e32 v56, v56                                     // 000000006100: 7E704138
	v_mfma_f32_16x16x16_bf16 v[64:67], v[88:89], a[56:57], v[64:67]// 000000006104: D3E10040 15027158
	ds_read_b128 a[88:91], v12 offset:10880                    // 00000000610C: DBFE2A80 5800000C
	ds_read_b128 a[92:95], v12 offset:11392                    // 000000006114: DBFE2C80 5C00000C
	ds_write_b32 v11, v35 offset:3232                          // 00000000611C: D81A0CA0 0000230B
	v_mfma_f32_16x16x16_bf16 v[64:67], v[90:91], a[58:59], v[64:67]// 000000006124: D3E10040 1502755A
	v_exp_f32_e32 v57, v57                                     // 00000000612C: 7E724139
	v_mfma_f32_16x16x16_bf16 v[64:67], v[92:93], a[60:61], v[64:67]// 000000006130: D3E10040 1502795C
	ds_read_b64 v[144:145], v19 offset:28416                   // 000000006138: D8EC6F00 90000013
	ds_read_b64 v[146:147], v19 offset:30464                   // 000000006140: D8EC7700 92000013
	ds_read_b64 v[148:149], v19 offset:32512                   // 000000006148: D8EC7F00 94000013
	ds_write_b32 v11, v36 offset:4352                          // 000000006150: D81A1100 0000240B
	v_mfma_f32_16x16x16_bf16 v[64:67], v[94:95], a[62:63], v[64:67]// 000000006158: D3E10040 15027D5E
	v_exp_f32_e32 v58, v58                                     // 000000006160: 7E74413A
	v_mfma_f32_16x16x16_bf16 v[64:67], v[96:97], a[64:65], v[64:67]// 000000006164: D3E10040 15028160
	ds_read_b64 v[150:151], v19 offset:34560                   // 00000000616C: D8EC8700 96000013
	ds_read_b64 v[152:153], v19 offset:36608                   // 000000006174: D8EC8F00 98000013
	ds_read_b64 v[154:155], v19 offset:38656                   // 00000000617C: D8EC9700 9A000013
	ds_write_b32 v11, v37 offset:5408                          // 000000006184: D81A1520 0000250B
	v_mfma_f32_16x16x16_bf16 v[64:67], v[98:99], a[66:67], v[64:67]// 00000000618C: D3E10040 15028562
	v_exp_f32_e32 v59, v59                                     // 000000006194: 7E76413B
	v_mfma_f32_16x16x16_bf16 v[64:67], v[100:101], a[68:69], v[64:67]// 000000006198: D3E10040 15028964
	v_perm_b32 v156, v57, v56, s64                             // 0000000061A0: D1ED009C 01027139
	v_mfma_f32_16x16x16_bf16 v[64:67], v[102:103], a[70:71], v[64:67]// 0000000061A8: D3E10040 15028D66
	v_perm_b32 v157, v59, v58, s64                             // 0000000061B0: D1ED009D 0102753B
	v_add_u32_e32 v7, s66, v7                                  // 0000000061B8: 680E0E42
	v_add_u32_e32 v8, s66, v8                                  // 0000000061BC: 68101042
	s_waitcnt lgkmcnt(0)                                       // 0000000061C0: BF8CC07F
	s_barrier                                                  // 0000000061C4: BF8A0000
	v_mfma_f32_16x16x16_bf16 v[160:163], v[104:105], v[156:157], v[160:163]// 0000000061C8: D3E100A0 06833968
	v_subrev_f32_dpp v64, v158, v64 quad_perm:[0,0,0,0] row_mask:0xf bank_mask:0xf// 0000000061D0: 068080FA FF00009E
	v_subrev_f32_dpp v65, v158, v65 quad_perm:[1,1,1,1] row_mask:0xf bank_mask:0xf// 0000000061D8: 068282FA FF00559E
	buffer_atomic_add_f32 v144, v7, s[32:35], 0 offen          // 0000000061E0: E1341000 80089007
	v_mfma_f32_16x16x16_bf16 v[164:167], v[106:107], v[156:157], v[164:167]// 0000000061E8: D3E100A4 0693396A
	v_subrev_f32_dpp v66, v158, v66 quad_perm:[2,2,2,2] row_mask:0xf bank_mask:0xf// 0000000061F0: 068484FA FF00AA9E
	v_subrev_f32_dpp v67, v158, v67 quad_perm:[3,3,3,3] row_mask:0xf bank_mask:0xf// 0000000061F8: 068686FA FF00FF9E
	buffer_atomic_add_f32 v145, v8, s[32:35], 0 offen          // 000000006200: E1341000 80089108
	v_mfma_f32_16x16x16_bf16 v[168:171], v[108:109], v[156:157], v[168:171]// 000000006208: D3E100A8 06A3396C
	v_mul_f32_e32 v64, v56, v64                                // 000000006210: 0A808138
	v_mul_f32_e32 v65, v57, v65                                // 000000006214: 0A828339
	buffer_atomic_add_f32 v146, v7, s[32:35], 0 offen offset:128// 000000006218: E1341080 80089207
	v_mfma_f32_16x16x16_bf16 v[172:175], v[110:111], v[156:157], v[172:175]// 000000006220: D3E100AC 06B3396E
	v_mul_f32_e32 v66, v58, v66                                // 000000006228: 0A84853A
	v_mul_f32_e32 v67, v59, v67                                // 00000000622C: 0A86873B
	buffer_atomic_add_f32 v147, v8, s[32:35], 0 offen offset:128// 000000006230: E1341080 80089308
	v_mfma_f32_16x16x16_bf16 v[176:179], v[112:113], v[156:157], v[176:179]// 000000006238: D3E100B0 06C33970
	v_perm_b32 v64, v65, v64, s64                              // 000000006240: D1ED0040 01028141
	v_mfma_f32_16x16x16_bf16 v[180:183], v[114:115], v[156:157], v[180:183]// 000000006248: D3E100B4 06D33972
	v_perm_b32 v65, v67, v66, s64                              // 000000006250: D1ED0041 01028543
	v_mfma_f32_16x16x16_bf16 v[184:187], v[116:117], v[156:157], v[184:187]// 000000006258: D3E100B8 06E33974
	v_mov_b32_dpp v16, v64 quad_perm:[1,0,3,2] row_mask:0xf bank_mask:0xf// 000000006260: 7E2002FA FF00B140
	v_perm_b32 v56, v16, v64, v15                              // 000000006268: D1ED0038 043E8110
	buffer_atomic_add_f32 v148, v7, s[32:35], 0 offen offset:256// 000000006270: E1341100 80089407
	v_mfma_f32_16x16x16_bf16 v[188:191], v[118:119], v[156:157], v[188:191]// 000000006278: D3E100BC 06F33976
	v_mov_b32_dpp v16, v65 quad_perm:[1,0,3,2] row_mask:0xf bank_mask:0xf// 000000006280: 7E2002FA FF00B141
	v_perm_b32 v57, v16, v65, v15                              // 000000006288: D1ED0039 043E8310
	buffer_atomic_add_f32 v149, v8, s[32:35], 0 offen offset:256// 000000006290: E1341100 80089508
	v_mfma_f32_16x16x16_bf16 v[192:195], v[120:121], v[156:157], v[192:195]// 000000006298: D3E100C0 07033978
	ds_write_b32 v13, v68 offset:6528                          // 0000000062A0: D81A1980 0000440D
	ds_write_b32 v13, v69 offset:7584                          // 0000000062A8: D81A1DA0 0000450D
	v_mfma_f32_16x16x16_bf16 v[196:199], v[122:123], v[156:157], v[196:199]// 0000000062B0: D3E100C4 0713397A
	ds_write_b32 v18, v56 offset:26112                         // 0000000062B8: D81A6600 00003812
	ds_write_b32 v18, v57 offset:26656                         // 0000000062C0: D81A6820 00003912
	v_mfma_f32_16x16x16_bf16 v[200:203], v[124:125], v[156:157], v[200:203]// 0000000062C8: D3E100C8 0723397C
	ds_write_b32 v13, v70 offset:8704                          // 0000000062D0: D81A2200 0000460D
	ds_write_b32 v13, v71 offset:9760                          // 0000000062D8: D81A2620 0000470D
	v_mfma_f32_16x16x16_bf16 v[204:207], v[126:127], v[156:157], v[204:207]// 0000000062E0: D3E100CC 0733397E
	ds_write_b32 v13, v72 offset:10880                         // 0000000062E8: D81A2A80 0000480D
	ds_write_b32 v13, v73 offset:11936                         // 0000000062F0: D81A2EA0 0000490D
	s_barrier                                                  // 0000000062F8: BF8A0000
	v_mfma_f32_16x16x16_bf16 a[96:99], a[72:73], v[64:65], a[96:99]// 0000000062FC: D3E18060 0D828148
	buffer_atomic_add_f32 v150, v7, s[32:35], 0 offen offset:384// 000000006304: E1341180 80089607
	buffer_atomic_add_f32 v151, v8, s[32:35], 0 offen offset:384// 00000000630C: E1341180 80089708
	v_mfma_f32_16x16x16_bf16 a[100:103], a[74:75], v[64:65], a[100:103]// 000000006314: D3E18064 0D92814A
	ds_read_b32 v128, v21 offset:40704                         // 00000000631C: D86C9F00 80000015
	ds_read_b32 v158, v21 offset:40960                         // 000000006324: D86CA000 9E000015
	v_mfma_f32_16x16x16_bf16 a[104:107], a[76:77], v[64:65], a[104:107]// 00000000632C: D3E18068 0DA2814C
	s_waitcnt lgkmcnt(6)                                       // 000000006334: BF8CC67F
	s_barrier                                                  // 000000006338: BF8A0000
	v_mfma_f32_16x16x16_bf16 a[108:111], a[78:79], v[64:65], a[108:111]// 00000000633C: D3E1806C 0DB2814E
	ds_read_b128 v[56:59], v17 offset:26112                    // 000000006344: D9FE6600 38000011
	v_mfma_f32_16x16x16_bf16 a[112:115], a[80:81], v[64:65], a[112:115]// 00000000634C: D3E18070 0DC28150
	s_mov_b64 exec, s[92:93]                                   // 000000006354: BEFE015C
	buffer_atomic_add_f32 v152, v7, s[32:35], 0 offen offset:512// 000000006358: E1341200 80089807
	s_mov_b64 exec, s[86:87]                                   // 000000006360: BEFE0156
	v_mfma_f32_16x16x16_bf16 a[116:119], a[82:83], v[64:65], a[116:119]// 000000006364: D3E18074 0DD28152
	ds_read_b128 v[60:63], v17 offset:27264                    // 00000000636C: D9FE6A80 3C000011
	v_mfma_f32_16x16x16_bf16 a[120:123], a[84:85], v[64:65], a[120:123]// 000000006374: D3E18078 0DE28154
	s_mov_b64 exec, s[92:93]                                   // 00000000637C: BEFE015C
	buffer_atomic_add_f32 v153, v8, s[32:35], 0 offen offset:512// 000000006380: E1341200 80089908
	s_mov_b64 exec, s[86:87]                                   // 000000006388: BEFE0156
	v_mfma_f32_16x16x16_bf16 a[124:127], a[86:87], v[64:65], a[124:127]// 00000000638C: D3E1807C 0DF28156
	ds_write_b32 v13, v74 offset:19584                         // 000000006394: D81A4C80 00004A0D
	ds_write_b32 v13, v75 offset:20640                         // 00000000639C: D81A50A0 00004B0D
	v_mfma_f32_16x16x16_bf16 a[128:131], a[88:89], v[64:65], a[128:131]// 0000000063A4: D3E18080 0E028158
	s_mov_b64 exec, s[94:95]                                   // 0000000063AC: BEFE015E
	buffer_atomic_add_f32 v154, v7, s[32:35], 0 offen offset:640// 0000000063B0: E1341280 80089A07
	s_mov_b64 exec, s[86:87]                                   // 0000000063B8: BEFE0156
	v_mfma_f32_16x16x16_bf16 a[132:135], a[90:91], v[64:65], a[132:135]// 0000000063BC: D3E18084 0E12815A
	ds_write_b32 v13, v76 offset:21760                         // 0000000063C4: D81A5500 00004C0D
	ds_write_b32 v13, v77 offset:22816                         // 0000000063CC: D81A5920 00004D0D
	v_mfma_f32_16x16x16_bf16 a[136:139], a[92:93], v[64:65], a[136:139]// 0000000063D4: D3E18088 0E22815C
	s_mov_b64 exec, s[94:95]                                   // 0000000063DC: BEFE015E
	buffer_atomic_add_f32 v155, v8, s[32:35], 0 offen offset:640// 0000000063E0: E1341280 80089B08
	s_mov_b64 exec, s[86:87]                                   // 0000000063E8: BEFE0156
	v_mfma_f32_16x16x16_bf16 a[140:143], a[94:95], v[64:65], a[140:143]// 0000000063EC: D3E1808C 0E32815E
	ds_write_b32 v13, v78 offset:23936                         // 0000000063F4: D81A5D80 00004E0D
	ds_write_b32 v13, v79 offset:24992                         // 0000000063FC: D81A61A0 00004F0D
	s_waitcnt vmcnt(12) lgkmcnt(6)                             // 000000006404: BF8C067C
	s_barrier                                                  // 000000006408: BF8A0000
	v_mfma_f32_16x16x16_bf16 v[132:135], v[56:57], a[24:25], 0 // 00000000640C: D3E10084 12023138
	v_mul_f32_e32 v128, s48, v128                              // 000000006414: 0B010030
	v_perm_b32 v68, v39, v38, s63                              // 000000006418: D1ED0044 00FE4D27
	v_perm_b32 v69, v39, v38, s64                              // 000000006420: D1ED0045 01024D27
	v_perm_b32 v70, v41, v40, s63                              // 000000006428: D1ED0046 00FE5129
	v_mfma_f32_16x16x16_bf16 v[132:135], v[58:59], a[30:31], v[132:135]// 000000006430: D3E10084 16123D3A
	ds_read_b128 a[72:75], v10                                 // 000000006438: DBFE0000 4800000A
	ds_read_b128 a[76:79], v10 offset:512                      // 000000006440: DBFE0200 4C00000A
	ds_read_b128 a[80:83], v10 offset:2176                     // 000000006448: DBFE0880 5000000A
	buffer_load_dword v32, v1, s[8:11], 0 idxen                // 000000006450: E0502000 80022001
	buffer_load_dword v33, v2, s[8:11], 0 idxen                // 000000006458: E0502000 80022102
	v_mfma_f32_16x16x16_bf16 v[132:135], v[60:61], a[36:37], v[132:135]// 000000006460: D3E10084 1612493C
	v_perm_b32 v71, v41, v40, s64                              // 000000006468: D1ED0047 01025129
	v_perm_b32 v72, v43, v42, s63                              // 000000006470: D1ED0048 00FE552B
	v_perm_b32 v73, v43, v42, s64                              // 000000006478: D1ED0049 0102552B
	v_mfma_f32_16x16x16_bf16 v[132:135], v[62:63], a[42:43], v[132:135]// 000000006480: D3E10084 1612553E
	ds_read_b128 a[84:87], v10 offset:2688                     // 000000006488: DBFE0A80 5400000A
	ds_read_b128 a[88:91], v10 offset:4352                     // 000000006490: DBFE1100 5800000A
	ds_read_b128 a[92:95], v10 offset:4864                     // 000000006498: DBFE1300 5C00000A
	buffer_load_dword v34, v1, s[8:11], 0 idxen offset:128     // 0000000064A0: E0502080 80022201
	buffer_load_dword v35, v2, s[8:11], 0 idxen offset:128     // 0000000064A8: E0502080 80022302
	v_mfma_f32_16x16x16_bf16 v[136:139], v[56:57], a[26:27], 0 // 0000000064B0: D3E10088 12023538
	v_perm_b32 v74, v51, v50, s63                              // 0000000064B8: D1ED004A 00FE6533
	v_perm_b32 v75, v51, v50, s64                              // 0000000064C0: D1ED004B 01026533
	v_perm_b32 v76, v53, v52, s63                              // 0000000064C8: D1ED004C 00FE6935
	v_mov_b32_dpp v131, v128 quad_perm:[3,3,3,3] row_mask:0xf bank_mask:0xf// 0000000064D0: 7F0602FA FF00FF80
	v_mov_b32_dpp v130, v128 quad_perm:[2,2,2,2] row_mask:0xf bank_mask:0xf// 0000000064D8: 7F0402FA FF00AA80
	v_mfma_f32_16x16x16_bf16 v[136:139], v[58:59], a[32:33], v[136:139]// 0000000064E0: D3E10088 1622413A
	ds_read_b128 v[80:83], v10 offset:13056                    // 0000000064E8: D9FE3300 5000000A
	ds_read_b128 v[84:87], v10 offset:13568                    // 0000000064F0: D9FE3500 5400000A
	ds_read_b128 v[88:91], v10 offset:15232                    // 0000000064F8: D9FE3B80 5800000A
	buffer_load_dword v44, v212, s[20:23], 0 idxen             // 000000006500: E0502000 80052CD4
	buffer_load_dword v45, v213, s[20:23], 0 idxen             // 000000006508: E0502000 80052DD5
	v_mfma_f32_16x16x16_bf16 v[136:139], v[60:61], a[38:39], v[136:139]// 000000006510: D3E10088 16224D3C
	v_perm_b32 v77, v53, v52, s64                              // 000000006518: D1ED004D 01026935
	v_perm_b32 v78, v55, v54, s63                              // 000000006520: D1ED004E 00FE6D37
	v_perm_b32 v79, v55, v54, s64                              // 000000006528: D1ED004F 01026D37
	v_mov_b32_dpp v129, v128 quad_perm:[1,1,1,1] row_mask:0xf bank_mask:0xf// 000000006530: 7F0202FA FF005580
	v_mov_b32_dpp v128, v128 quad_perm:[0,0,0,0] row_mask:0xf bank_mask:0xf// 000000006538: 7F0002FA FF000080
	v_mfma_f32_16x16x16_bf16 v[136:139], v[62:63], a[44:45], v[136:139]// 000000006540: D3E10088 1622593E
	ds_read_b128 v[92:95], v10 offset:15744                    // 000000006548: D9FE3D80 5C00000A
	ds_read_b128 v[96:99], v10 offset:17408                    // 000000006550: D9FE4400 6000000A
	ds_read_b128 v[100:103], v10 offset:17920                  // 000000006558: D9FE4600 6400000A
	buffer_load_dword v46, v212, s[20:23], 0 idxen offset:128  // 000000006560: E0502080 80052ED4
	buffer_load_dword v47, v213, s[20:23], 0 idxen offset:128  // 000000006568: E0502080 80052FD5
	v_mfma_f32_16x16x16_bf16 v[140:143], v[56:57], a[28:29], 0 // 000000006570: D3E1008C 12023938
	s_add_u32 s60, 64, s59                                     // 000000006578: 803C3BC0
	s_cmp_lt_u32 s60, s58                                      // 00000000657C: BF0A3A3C
	s_cselect_b32 s68, s68, 0                                  // 000000006580: 85448044
	s_cselect_b32 s97, s97, 0                                  // 000000006584: 85618061
	;; [unrolled: 1-line block ×3, first 2 shown]
	v_mfma_f32_16x16x16_bf16 v[140:143], v[58:59], a[34:35], v[140:143]// 00000000658C: D3E1008C 1632453A
	buffer_load_dword v9, s[24:27], 0 idxen lds                // 000000006594: E0512000 80060009
	v_mov_b32_e32 v36, 0                                       // 00000000659C: 7E480280
	s_mov_b64 exec, s[88:89]                                   // 0000000065A0: BEFE0158
	buffer_load_dword v36, v1, s[8:11], 0 idxen offset:256     // 0000000065A4: E0502100 80022401
	s_mov_b64 exec, s[86:87]                                   // 0000000065AC: BEFE0156
	v_mov_b32_e32 v37, 0                                       // 0000000065B0: 7E4A0280
	s_mov_b64 exec, s[88:89]                                   // 0000000065B4: BEFE0158
	buffer_load_dword v37, v2, s[8:11], 0 idxen offset:256     // 0000000065B8: E0502100 80022502
	s_mov_b64 exec, s[86:87]                                   // 0000000065C0: BEFE0156
	v_mfma_f32_16x16x16_bf16 v[140:143], v[60:61], a[40:41], v[140:143]// 0000000065C4: D3E1008C 1632513C
	v_mov_b32_e32 v48, 0                                       // 0000000065CC: 7E600280
	s_mov_b64 exec, s[88:89]                                   // 0000000065D0: BEFE0158
	buffer_load_dword v48, v212, s[20:23], 0 idxen offset:256  // 0000000065D4: E0502100 800530D4
	s_mov_b64 exec, s[86:87]                                   // 0000000065DC: BEFE0156
	v_mov_b32_e32 v49, 0                                       // 0000000065E0: 7E620280
	s_mov_b64 exec, s[88:89]                                   // 0000000065E4: BEFE0158
	buffer_load_dword v49, v213, s[20:23], 0 idxen offset:256  // 0000000065E8: E0502100 800531D5
	s_mov_b64 exec, s[86:87]                                   // 0000000065F0: BEFE0156
	v_add_u32_e32 v1, s68, v1                                  // 0000000065F4: 68020244
	v_add_u32_e32 v2, s68, v2                                  // 0000000065F8: 68040444
	v_add_u32_e32 v212, s97, v212                              // 0000000065FC: 69A9A861
	v_add_u32_e32 v213, s97, v213                              // 000000006600: 69ABAA61
	s_mov_b32 m0, s77                                          // 000000006604: BEFC004D
	v_add_u32_e32 v9, s69, v9                                  // 000000006608: 68121245
	v_mfma_f32_16x16x16_bf16 v[140:143], v[62:63], a[46:47], v[140:143]// 00000000660C: D3E1008C 16325D3E
	s_cmp_ge_u32 s59, 16                                       // 000000006614: BF09903B
	s_cselect_b32 s66, s67, s66                                // 000000006618: 85424243
	s_addk_i32 s59, 0x10                                       // 00000000661C: B73B0010
	s_nop 0                                                    // 000000006620: BF800000
	s_cmp_lt_i32 s59, s58                                      // 000000006624: BF043A3B
	s_cbranch_scc0 label_098C                                  // 000000006628: BF840001
	s_branch label_05FF                                        // 00000000662C: BF82FC73

0000000000006630 <label_098C>:
	s_nop 0                                                    // 000000006630: BF800000
	s_nop 0                                                    // 000000006634: BF800000
	s_branch label_0D1C                                        // 000000006638: BF82038D

000000000000663c <label_098F>:
	s_waitcnt lgkmcnt(0)                                       // 00000000663C: BF8CC07F
	s_barrier                                                  // 000000006640: BF8A0000
	v_mfma_f32_16x16x16_bf16 v[56:59], a[72:73], a[0:1], 0     // 000000006644: D3E10038 1A020148
	v_mul_f32_e32 v132, s47, v132                              // 00000000664C: 0B09082F
	v_mul_f32_e32 v133, s47, v133                              // 000000006650: 0B0B0A2F
	v_mul_f32_e32 v134, s47, v134                              // 000000006654: 0B0D0C2F
	v_mul_f32_e32 v135, s47, v135                              // 000000006658: 0B0F0E2F
	v_mfma_f32_16x16x16_bf16 v[56:59], a[74:75], a[2:3], v[56:59]// 00000000665C: D3E10038 1CE2054A
	ds_write_b32 v11, v50 offset:13056                         // 000000006664: D81A3300 0000320B
	ds_write_b32 v11, v51 offset:14112                         // 00000000666C: D81A3720 0000330B
	ds_write_b32 v11, v52 offset:15232                         // 000000006674: D81A3B80 0000340B
	v_mfma_f32_16x16x16_bf16 v[56:59], a[76:77], a[4:5], v[56:59]// 00000000667C: D3E10038 1CE2094C
	v_mul_f32_e32 v136, s47, v136                              // 000000006684: 0B11102F
	v_mul_f32_e32 v137, s47, v137                              // 000000006688: 0B13122F
	v_mul_f32_e32 v138, s47, v138                              // 00000000668C: 0B15142F
	v_mul_f32_e32 v139, s47, v139                              // 000000006690: 0B17162F
	v_mfma_f32_16x16x16_bf16 v[56:59], a[78:79], a[6:7], v[56:59]// 000000006694: D3E10038 1CE20D4E
	ds_write_b32 v11, v53 offset:16288                         // 00000000669C: D81A3FA0 0000350B
	ds_write_b32 v11, v54 offset:17408                         // 0000000066A4: D81A4400 0000360B
	ds_write_b32 v11, v55 offset:18464                         // 0000000066AC: D81A4820 0000370B
	v_mfma_f32_16x16x16_bf16 v[56:59], a[80:81], a[8:9], v[56:59]// 0000000066B4: D3E10038 1CE21150
	v_mul_f32_e32 v140, s47, v140                              // 0000000066BC: 0B19182F
	v_mul_f32_e32 v141, s47, v141                              // 0000000066C0: 0B1B1A2F
	v_mul_f32_e32 v142, s47, v142                              // 0000000066C4: 0B1D1C2F
	v_mul_f32_e32 v143, s47, v143                              // 0000000066C8: 0B1F1E2F
	v_mfma_f32_16x16x16_bf16 v[56:59], a[82:83], a[10:11], v[56:59]// 0000000066CC: D3E10038 1CE21552
	ds_write_b64 v20, v[132:133] offset:28416                  // 0000000066D4: D89A6F00 00008414
	ds_write_b64 v20, v[134:135] offset:28928                  // 0000000066DC: D89A7100 00008614
	v_mfma_f32_16x16x16_bf16 v[56:59], a[84:85], a[12:13], v[56:59]// 0000000066E4: D3E10038 1CE21954
	ds_write_b64 v20, v[136:137] offset:29440                  // 0000000066EC: D89A7300 00008814
	ds_write_b64 v20, v[138:139] offset:29952                  // 0000000066F4: D89A7500 00008A14
	v_mfma_f32_16x16x16_bf16 v[56:59], a[86:87], a[14:15], v[56:59]// 0000000066FC: D3E10038 1CE21D56
	ds_write_b64 v20, v[140:141] offset:30464                  // 000000006704: D89A7700 00008C14
	ds_write_b64 v20, v[142:143] offset:30976                  // 00000000670C: D89A7900 00008E14
	v_mfma_f32_16x16x16_bf16 v[56:59], a[88:89], a[16:17], v[56:59]// 000000006714: D3E10038 1CE22158
	ds_read_b128 v[104:107], v12 offset:19584                  // 00000000671C: D9FE4C80 6800000C
	v_mfma_f32_16x16x16_bf16 v[56:59], a[90:91], a[18:19], v[56:59]// 000000006724: D3E10038 1CE2255A
	ds_read_b128 v[108:111], v12 offset:20096                  // 00000000672C: D9FE4E80 6C00000C
	v_mfma_f32_16x16x16_bf16 v[56:59], a[92:93], a[20:21], v[56:59]// 000000006734: D3E10038 1CE2295C
	ds_read_b128 v[112:115], v12 offset:21760                  // 00000000673C: D9FE5500 7000000C
	ds_read_b128 v[116:119], v12 offset:22272                  // 000000006744: D9FE5700 7400000C
	v_mfma_f32_16x16x16_bf16 v[56:59], a[94:95], a[22:23], v[56:59]// 00000000674C: D3E10038 1CE22D5E
	ds_read_b128 v[120:123], v12 offset:23936                  // 000000006754: D9FE5D80 7800000C
	ds_read_b128 v[124:127], v12 offset:24448                  // 00000000675C: D9FE5F80 7C00000C
	s_cmp_lt_i32 s99, 64                                       // 000000006764: BF04C063
	s_cbranch_scc0 label_09EA                                  // 000000006768: BF84000F
	v_and_b32_e32 v28, 15, v0                                  // 00000000676C: 2638008F
	v_mul_i32_i24_e64 v29, s46, 16                             // 000000006770: D106001D 0001202E
	v_add_u32_e32 v28, v28, v29                                // 000000006778: 68383B1C
	v_cmp_lt_u32_e64 s[60:61], v28, s99                        // 00000000677C: D0C9003C 0000C71C
	s_nop 1                                                    // 000000006784: BF800001
	v_cndmask_b32_e64 v56, v159, v56, s[60:61]                 // 000000006788: D1000038 00F2719F
	v_cndmask_b32_e64 v57, v159, v57, s[60:61]                 // 000000006790: D1000039 00F2739F
	v_cndmask_b32_e64 v58, v159, v58, s[60:61]                 // 000000006798: D100003A 00F2759F
	v_cndmask_b32_e64 v59, v159, v59, s[60:61]                 // 0000000067A0: D100003B 00F2779F

00000000000067a8 <label_09EA>:
	s_waitcnt lgkmcnt(6)                                       // 0000000067A8: BF8CC67F
	s_barrier                                                  // 0000000067AC: BF8A0000
	v_mfma_f32_16x16x16_bf16 v[64:67], v[80:81], a[48:49], 0   // 0000000067B0: D3E10040 12026150
	v_fma_f32 v56, v56, s57, -v128                             // 0000000067B8: D1CB0038 86007338
	v_fma_f32 v57, v57, s57, -v129                             // 0000000067C0: D1CB0039 86047339
	v_fma_f32 v58, v58, s57, -v130                             // 0000000067C8: D1CB003A 8608733A
	v_fma_f32 v59, v59, s57, -v131                             // 0000000067D0: D1CB003B 860C733B
	v_mfma_f32_16x16x16_bf16 v[64:67], v[82:83], a[50:51], v[64:67]// 0000000067D8: D3E10040 15026552
	ds_read_b128 a[72:75], v12 offset:6528                     // 0000000067E0: DBFE1980 4800000C
	ds_read_b128 a[76:79], v12 offset:7040                     // 0000000067E8: DBFE1B80 4C00000C
	ds_write_b32 v11, v38                                      // 0000000067F0: D81A0000 0000260B
	ds_write_b32 v11, v39 offset:1056                          // 0000000067F8: D81A0420 0000270B
	v_mfma_f32_16x16x16_bf16 v[64:67], v[84:85], a[52:53], v[64:67]// 000000006800: D3E10040 15026954
	v_exp_f32_e32 v56, v56                                     // 000000006808: 7E704138
	v_mfma_f32_16x16x16_bf16 v[64:67], v[86:87], a[54:55], v[64:67]// 00000000680C: D3E10040 15026D56
	ds_read_b128 a[80:83], v12 offset:8704                     // 000000006814: DBFE2200 5000000C
	ds_read_b128 a[84:87], v12 offset:9216                     // 00000000681C: DBFE2400 5400000C
	ds_write_b32 v11, v40 offset:2176                          // 000000006824: D81A0880 0000280B
	v_mfma_f32_16x16x16_bf16 v[64:67], v[88:89], a[56:57], v[64:67]// 00000000682C: D3E10040 15027158
	v_exp_f32_e32 v57, v57                                     // 000000006834: 7E724139
	v_mfma_f32_16x16x16_bf16 v[64:67], v[90:91], a[58:59], v[64:67]// 000000006838: D3E10040 1502755A
	ds_read_b128 a[88:91], v12 offset:10880                    // 000000006840: DBFE2A80 5800000C
	ds_read_b128 a[92:95], v12 offset:11392                    // 000000006848: DBFE2C80 5C00000C
	ds_write_b32 v11, v41 offset:3232                          // 000000006850: D81A0CA0 0000290B
	v_mfma_f32_16x16x16_bf16 v[64:67], v[92:93], a[60:61], v[64:67]// 000000006858: D3E10040 1502795C
	v_exp_f32_e32 v58, v58                                     // 000000006860: 7E74413A
	v_mfma_f32_16x16x16_bf16 v[64:67], v[94:95], a[62:63], v[64:67]// 000000006864: D3E10040 15027D5E
	ds_read_b64 v[144:145], v19 offset:28416                   // 00000000686C: D8EC6F00 90000013
	ds_read_b64 v[146:147], v19 offset:30464                   // 000000006874: D8EC7700 92000013
	ds_read_b64 v[148:149], v19 offset:32512                   // 00000000687C: D8EC7F00 94000013
	ds_write_b32 v11, v42 offset:4352                          // 000000006884: D81A1100 00002A0B
	v_mfma_f32_16x16x16_bf16 v[64:67], v[96:97], a[64:65], v[64:67]// 00000000688C: D3E10040 15028160
	v_exp_f32_e32 v59, v59                                     // 000000006894: 7E76413B
	v_mfma_f32_16x16x16_bf16 v[64:67], v[98:99], a[66:67], v[64:67]// 000000006898: D3E10040 15028562
	ds_read_b64 v[150:151], v19 offset:34560                   // 0000000068A0: D8EC8700 96000013
	ds_read_b64 v[152:153], v19 offset:36608                   // 0000000068A8: D8EC8F00 98000013
	ds_read_b64 v[154:155], v19 offset:38656                   // 0000000068B0: D8EC9700 9A000013
	ds_write_b32 v11, v43 offset:5408                          // 0000000068B8: D81A1520 00002B0B
	v_mfma_f32_16x16x16_bf16 v[64:67], v[100:101], a[68:69], v[64:67]// 0000000068C0: D3E10040 15028964
	v_perm_b32 v156, v57, v56, s64                             // 0000000068C8: D1ED009C 01027139
	v_mfma_f32_16x16x16_bf16 v[64:67], v[102:103], a[70:71], v[64:67]// 0000000068D0: D3E10040 15028D66
	v_perm_b32 v157, v59, v58, s64                             // 0000000068D8: D1ED009D 0102753B
	v_add_u32_e32 v7, s66, v7                                  // 0000000068E0: 680E0E42
	v_add_u32_e32 v8, s66, v8                                  // 0000000068E4: 68101042
	s_waitcnt lgkmcnt(0)                                       // 0000000068E8: BF8CC07F
	s_barrier                                                  // 0000000068EC: BF8A0000
	v_mfma_f32_16x16x16_bf16 v[160:163], v[104:105], v[156:157], v[160:163]// 0000000068F0: D3E100A0 06833968
	v_subrev_f32_dpp v64, v158, v64 quad_perm:[0,0,0,0] row_mask:0xf bank_mask:0xf// 0000000068F8: 068080FA FF00009E
	v_subrev_f32_dpp v65, v158, v65 quad_perm:[1,1,1,1] row_mask:0xf bank_mask:0xf// 000000006900: 068282FA FF00559E
	buffer_atomic_add_f32 v144, v7, s[32:35], 0 offen          // 000000006908: E1341000 80089007
	v_mfma_f32_16x16x16_bf16 v[164:167], v[106:107], v[156:157], v[164:167]// 000000006910: D3E100A4 0693396A
	v_subrev_f32_dpp v66, v158, v66 quad_perm:[2,2,2,2] row_mask:0xf bank_mask:0xf// 000000006918: 068484FA FF00AA9E
	v_subrev_f32_dpp v67, v158, v67 quad_perm:[3,3,3,3] row_mask:0xf bank_mask:0xf// 000000006920: 068686FA FF00FF9E
	buffer_atomic_add_f32 v145, v8, s[32:35], 0 offen          // 000000006928: E1341000 80089108
	v_mfma_f32_16x16x16_bf16 v[168:171], v[108:109], v[156:157], v[168:171]// 000000006930: D3E100A8 06A3396C
	v_mul_f32_e32 v64, v56, v64                                // 000000006938: 0A808138
	v_mul_f32_e32 v65, v57, v65                                // 00000000693C: 0A828339
	buffer_atomic_add_f32 v146, v7, s[32:35], 0 offen offset:128// 000000006940: E1341080 80089207
	v_mfma_f32_16x16x16_bf16 v[172:175], v[110:111], v[156:157], v[172:175]// 000000006948: D3E100AC 06B3396E
	v_mul_f32_e32 v66, v58, v66                                // 000000006950: 0A84853A
	v_mul_f32_e32 v67, v59, v67                                // 000000006954: 0A86873B
	buffer_atomic_add_f32 v147, v8, s[32:35], 0 offen offset:128// 000000006958: E1341080 80089308
	v_mfma_f32_16x16x16_bf16 v[176:179], v[112:113], v[156:157], v[176:179]// 000000006960: D3E100B0 06C33970
	v_perm_b32 v64, v65, v64, s64                              // 000000006968: D1ED0040 01028141
	v_mfma_f32_16x16x16_bf16 v[180:183], v[114:115], v[156:157], v[180:183]// 000000006970: D3E100B4 06D33972
	v_perm_b32 v65, v67, v66, s64                              // 000000006978: D1ED0041 01028543
	v_mfma_f32_16x16x16_bf16 v[184:187], v[116:117], v[156:157], v[184:187]// 000000006980: D3E100B8 06E33974
	v_mov_b32_dpp v16, v64 quad_perm:[1,0,3,2] row_mask:0xf bank_mask:0xf// 000000006988: 7E2002FA FF00B140
	v_perm_b32 v56, v16, v64, v15                              // 000000006990: D1ED0038 043E8110
	buffer_atomic_add_f32 v148, v7, s[32:35], 0 offen offset:256// 000000006998: E1341100 80089407
	v_mfma_f32_16x16x16_bf16 v[188:191], v[118:119], v[156:157], v[188:191]// 0000000069A0: D3E100BC 06F33976
	v_mov_b32_dpp v16, v65 quad_perm:[1,0,3,2] row_mask:0xf bank_mask:0xf// 0000000069A8: 7E2002FA FF00B141
	v_perm_b32 v57, v16, v65, v15                              // 0000000069B0: D1ED0039 043E8310
	buffer_atomic_add_f32 v149, v8, s[32:35], 0 offen offset:256// 0000000069B8: E1341100 80089508
	v_mfma_f32_16x16x16_bf16 v[192:195], v[120:121], v[156:157], v[192:195]// 0000000069C0: D3E100C0 07033978
	ds_write_b32 v13, v68 offset:6528                          // 0000000069C8: D81A1980 0000440D
	ds_write_b32 v13, v69 offset:7584                          // 0000000069D0: D81A1DA0 0000450D
	v_mfma_f32_16x16x16_bf16 v[196:199], v[122:123], v[156:157], v[196:199]// 0000000069D8: D3E100C4 0713397A
	ds_write_b32 v18, v56 offset:26112                         // 0000000069E0: D81A6600 00003812
	ds_write_b32 v18, v57 offset:26656                         // 0000000069E8: D81A6820 00003912
	v_mfma_f32_16x16x16_bf16 v[200:203], v[124:125], v[156:157], v[200:203]// 0000000069F0: D3E100C8 0723397C
	ds_write_b32 v13, v70 offset:8704                          // 0000000069F8: D81A2200 0000460D
	ds_write_b32 v13, v71 offset:9760                          // 000000006A00: D81A2620 0000470D
	v_mfma_f32_16x16x16_bf16 v[204:207], v[126:127], v[156:157], v[204:207]// 000000006A08: D3E100CC 0733397E
	ds_write_b32 v13, v72 offset:10880                         // 000000006A10: D81A2A80 0000480D
	ds_write_b32 v13, v73 offset:11936                         // 000000006A18: D81A2EA0 0000490D
	s_barrier                                                  // 000000006A20: BF8A0000
	v_mfma_f32_16x16x16_bf16 a[96:99], a[72:73], v[64:65], a[96:99]// 000000006A24: D3E18060 0D828148
	ds_read_b32 v128, v21 offset:41216                         // 000000006A2C: D86CA100 80000015
	ds_read_b32 v158, v21 offset:41472                         // 000000006A34: D86CA200 9E000015
	v_mfma_f32_16x16x16_bf16 a[100:103], a[74:75], v[64:65], a[100:103]// 000000006A3C: D3E18064 0D92814A
	buffer_atomic_add_f32 v150, v7, s[32:35], 0 offen offset:384// 000000006A44: E1341180 80089607
	buffer_atomic_add_f32 v151, v8, s[32:35], 0 offen offset:384// 000000006A4C: E1341180 80089708
	v_mfma_f32_16x16x16_bf16 a[104:107], a[76:77], v[64:65], a[104:107]// 000000006A54: D3E18068 0DA2814C
	s_waitcnt lgkmcnt(6)                                       // 000000006A5C: BF8CC67F
	s_barrier                                                  // 000000006A60: BF8A0000
	v_mfma_f32_16x16x16_bf16 a[108:111], a[78:79], v[64:65], a[108:111]// 000000006A64: D3E1806C 0DB2814E
	s_mov_b64 exec, s[92:93]                                   // 000000006A6C: BEFE015C
	buffer_atomic_add_f32 v152, v7, s[32:35], 0 offen offset:512// 000000006A70: E1341200 80089807
	s_mov_b64 exec, s[86:87]                                   // 000000006A78: BEFE0156
	v_mfma_f32_16x16x16_bf16 a[112:115], a[80:81], v[64:65], a[112:115]// 000000006A7C: D3E18070 0DC28150
	ds_read_b128 v[56:59], v17 offset:26112                    // 000000006A84: D9FE6600 38000011
	v_mfma_f32_16x16x16_bf16 a[116:119], a[82:83], v[64:65], a[116:119]// 000000006A8C: D3E18074 0DD28152
	s_mov_b64 exec, s[92:93]                                   // 000000006A94: BEFE015C
	buffer_atomic_add_f32 v153, v8, s[32:35], 0 offen offset:512// 000000006A98: E1341200 80089908
	s_mov_b64 exec, s[86:87]                                   // 000000006AA0: BEFE0156
	v_mfma_f32_16x16x16_bf16 a[120:123], a[84:85], v[64:65], a[120:123]// 000000006AA4: D3E18078 0DE28154
	ds_read_b128 v[60:63], v17 offset:27264                    // 000000006AAC: D9FE6A80 3C000011
	v_mfma_f32_16x16x16_bf16 a[124:127], a[86:87], v[64:65], a[124:127]// 000000006AB4: D3E1807C 0DF28156
	s_mov_b64 exec, s[94:95]                                   // 000000006ABC: BEFE015E
	buffer_atomic_add_f32 v154, v7, s[32:35], 0 offen offset:640// 000000006AC0: E1341280 80089A07
	s_mov_b64 exec, s[86:87]                                   // 000000006AC8: BEFE0156
	v_mfma_f32_16x16x16_bf16 a[128:131], a[88:89], v[64:65], a[128:131]// 000000006ACC: D3E18080 0E028158
	ds_write_b32 v13, v74 offset:19584                         // 000000006AD4: D81A4C80 00004A0D
	ds_write_b32 v13, v75 offset:20640                         // 000000006ADC: D81A50A0 00004B0D
	v_mfma_f32_16x16x16_bf16 a[132:135], a[90:91], v[64:65], a[132:135]// 000000006AE4: D3E18084 0E12815A
	s_mov_b64 exec, s[94:95]                                   // 000000006AEC: BEFE015E
	buffer_atomic_add_f32 v155, v8, s[32:35], 0 offen offset:640// 000000006AF0: E1341280 80089B08
	s_mov_b64 exec, s[86:87]                                   // 000000006AF8: BEFE0156
	v_mfma_f32_16x16x16_bf16 a[136:139], a[92:93], v[64:65], a[136:139]// 000000006AFC: D3E18088 0E22815C
	ds_write_b32 v13, v76 offset:21760                         // 000000006B04: D81A5500 00004C0D
	ds_write_b32 v13, v77 offset:22816                         // 000000006B0C: D81A5920 00004D0D
	v_mfma_f32_16x16x16_bf16 a[140:143], a[94:95], v[64:65], a[140:143]// 000000006B14: D3E1808C 0E32815E
	ds_write_b32 v13, v78 offset:23936                         // 000000006B1C: D81A5D80 00004E0D
	ds_write_b32 v13, v79 offset:24992                         // 000000006B24: D81A61A0 00004F0D
	s_waitcnt vmcnt(12) lgkmcnt(6)                             // 000000006B2C: BF8C067C
	s_barrier                                                  // 000000006B30: BF8A0000
	v_mfma_f32_16x16x16_bf16 v[132:135], v[56:57], a[24:25], 0 // 000000006B34: D3E10084 12023138
	ds_read_b128 a[72:75], v10                                 // 000000006B3C: DBFE0000 4800000A
	ds_read_b128 a[76:79], v10 offset:512                      // 000000006B44: DBFE0200 4C00000A
	ds_read_b128 a[80:83], v10 offset:2176                     // 000000006B4C: DBFE0880 5000000A
	buffer_load_dword v38, v1, s[8:11], 0 idxen                // 000000006B54: E0502000 80022601
	buffer_load_dword v39, v2, s[8:11], 0 idxen                // 000000006B5C: E0502000 80022702
	v_mfma_f32_16x16x16_bf16 v[132:135], v[58:59], a[30:31], v[132:135]// 000000006B64: D3E10084 16123D3A
	v_mul_f32_e32 v128, s48, v128                              // 000000006B6C: 0B010030
	v_perm_b32 v68, v33, v32, s63                              // 000000006B70: D1ED0044 00FE4121
	v_perm_b32 v69, v33, v32, s64                              // 000000006B78: D1ED0045 01024121
	v_perm_b32 v70, v35, v34, s63                              // 000000006B80: D1ED0046 00FE4523
	v_mfma_f32_16x16x16_bf16 v[132:135], v[60:61], a[36:37], v[132:135]// 000000006B88: D3E10084 1612493C
	ds_read_b128 a[84:87], v10 offset:2688                     // 000000006B90: DBFE0A80 5400000A
	ds_read_b128 a[88:91], v10 offset:4352                     // 000000006B98: DBFE1100 5800000A
	ds_read_b128 a[92:95], v10 offset:4864                     // 000000006BA0: DBFE1300 5C00000A
	buffer_load_dword v40, v1, s[8:11], 0 idxen offset:128     // 000000006BA8: E0502080 80022801
	buffer_load_dword v41, v2, s[8:11], 0 idxen offset:128     // 000000006BB0: E0502080 80022902
	v_mfma_f32_16x16x16_bf16 v[132:135], v[62:63], a[42:43], v[132:135]// 000000006BB8: D3E10084 1612553E
	v_perm_b32 v71, v35, v34, s64                              // 000000006BC0: D1ED0047 01024523
	v_perm_b32 v72, v37, v36, s63                              // 000000006BC8: D1ED0048 00FE4925
	v_perm_b32 v73, v37, v36, s64                              // 000000006BD0: D1ED0049 01024925
	v_mfma_f32_16x16x16_bf16 v[136:139], v[56:57], a[26:27], 0 // 000000006BD8: D3E10088 12023538
	ds_read_b128 v[80:83], v10 offset:13056                    // 000000006BE0: D9FE3300 5000000A
	ds_read_b128 v[84:87], v10 offset:13568                    // 000000006BE8: D9FE3500 5400000A
	ds_read_b128 v[88:91], v10 offset:15232                    // 000000006BF0: D9FE3B80 5800000A
	buffer_load_dword v50, v212, s[20:23], 0 idxen             // 000000006BF8: E0502000 800532D4
	buffer_load_dword v51, v213, s[20:23], 0 idxen             // 000000006C00: E0502000 800533D5
	v_mfma_f32_16x16x16_bf16 v[136:139], v[58:59], a[32:33], v[136:139]// 000000006C08: D3E10088 1622413A
	v_perm_b32 v74, v45, v44, s63                              // 000000006C10: D1ED004A 00FE592D
	v_perm_b32 v75, v45, v44, s64                              // 000000006C18: D1ED004B 0102592D
	v_perm_b32 v76, v47, v46, s63                              // 000000006C20: D1ED004C 00FE5D2F
	v_mov_b32_dpp v131, v128 quad_perm:[3,3,3,3] row_mask:0xf bank_mask:0xf// 000000006C28: 7F0602FA FF00FF80
	v_mov_b32_dpp v130, v128 quad_perm:[2,2,2,2] row_mask:0xf bank_mask:0xf// 000000006C30: 7F0402FA FF00AA80
	v_mfma_f32_16x16x16_bf16 v[136:139], v[60:61], a[38:39], v[136:139]// 000000006C38: D3E10088 16224D3C
	ds_read_b128 v[92:95], v10 offset:15744                    // 000000006C40: D9FE3D80 5C00000A
	ds_read_b128 v[96:99], v10 offset:17408                    // 000000006C48: D9FE4400 6000000A
	ds_read_b128 v[100:103], v10 offset:17920                  // 000000006C50: D9FE4600 6400000A
	buffer_load_dword v52, v212, s[20:23], 0 idxen offset:128  // 000000006C58: E0502080 800534D4
	buffer_load_dword v53, v213, s[20:23], 0 idxen offset:128  // 000000006C60: E0502080 800535D5
	v_mfma_f32_16x16x16_bf16 v[136:139], v[62:63], a[44:45], v[136:139]// 000000006C68: D3E10088 1622593E
	v_perm_b32 v77, v47, v46, s64                              // 000000006C70: D1ED004D 01025D2F
	v_perm_b32 v78, v49, v48, s63                              // 000000006C78: D1ED004E 00FE6131
	v_perm_b32 v79, v49, v48, s64                              // 000000006C80: D1ED004F 01026131
	v_mov_b32_dpp v129, v128 quad_perm:[1,1,1,1] row_mask:0xf bank_mask:0xf// 000000006C88: 7F0202FA FF005580
	v_mov_b32_dpp v128, v128 quad_perm:[0,0,0,0] row_mask:0xf bank_mask:0xf// 000000006C90: 7F0002FA FF000080
	v_mfma_f32_16x16x16_bf16 v[140:143], v[56:57], a[28:29], 0 // 000000006C98: D3E1008C 12023938
	buffer_load_dword v9, s[24:27], 0 idxen lds                // 000000006CA0: E0512000 80060009
	v_mov_b32_e32 v42, 0                                       // 000000006CA8: 7E540280
	s_mov_b64 exec, s[88:89]                                   // 000000006CAC: BEFE0158
	buffer_load_dword v42, v1, s[8:11], 0 idxen offset:256     // 000000006CB0: E0502100 80022A01
	s_mov_b64 exec, s[86:87]                                   // 000000006CB8: BEFE0156
	v_mov_b32_e32 v43, 0                                       // 000000006CBC: 7E560280
	s_mov_b64 exec, s[88:89]                                   // 000000006CC0: BEFE0158
	buffer_load_dword v43, v2, s[8:11], 0 idxen offset:256     // 000000006CC4: E0502100 80022B02
	s_mov_b64 exec, s[86:87]                                   // 000000006CCC: BEFE0156
	v_mfma_f32_16x16x16_bf16 v[140:143], v[58:59], a[34:35], v[140:143]// 000000006CD0: D3E1008C 1632453A
	s_add_u32 s60, 64, s59                                     // 000000006CD8: 803C3BC0
	s_cmp_lt_u32 s60, s58                                      // 000000006CDC: BF0A3A3C
	s_cselect_b32 s68, s68, 0                                  // 000000006CE0: 85448044
	s_cselect_b32 s97, s97, 0                                  // 000000006CE4: 85618061
	s_cselect_b32 s69, s69, 0                                  // 000000006CE8: 85458045
	v_mfma_f32_16x16x16_bf16 v[140:143], v[60:61], a[40:41], v[140:143]// 000000006CEC: D3E1008C 1632513C
	v_mov_b32_e32 v54, 0                                       // 000000006CF4: 7E6C0280
	s_mov_b64 exec, s[88:89]                                   // 000000006CF8: BEFE0158
	buffer_load_dword v54, v212, s[20:23], 0 idxen offset:256  // 000000006CFC: E0502100 800536D4
	s_mov_b64 exec, s[86:87]                                   // 000000006D04: BEFE0156
	v_mov_b32_e32 v55, 0                                       // 000000006D08: 7E6E0280
	s_mov_b64 exec, s[88:89]                                   // 000000006D0C: BEFE0158
	buffer_load_dword v55, v213, s[20:23], 0 idxen offset:256  // 000000006D10: E0502100 800537D5
	s_mov_b64 exec, s[86:87]                                   // 000000006D18: BEFE0156
	v_add_u32_e32 v1, s68, v1                                  // 000000006D1C: 68020244
	v_add_u32_e32 v2, s68, v2                                  // 000000006D20: 68040444
	v_add_u32_e32 v212, s97, v212                              // 000000006D24: 69A9A861
	v_add_u32_e32 v213, s97, v213                              // 000000006D28: 69ABAA61
	s_mov_b32 m0, s76                                          // 000000006D2C: BEFC004C
	v_add_u32_e32 v9, s69, v9                                  // 000000006D30: 68121245
	v_mfma_f32_16x16x16_bf16 v[140:143], v[62:63], a[46:47], v[140:143]// 000000006D34: D3E1008C 16325D3E
	s_cmp_ge_u32 s59, 16                                       // 000000006D3C: BF09903B
	s_cselect_b32 s66, s67, s66                                // 000000006D40: 85424243
	s_addk_i32 s59, 0x10                                       // 000000006D44: B73B0010
	s_nop 0                                                    // 000000006D48: BF800000
	s_cmp_lt_i32 s59, s58                                      // 000000006D4C: BF043A3B
	s_cbranch_scc0 label_098C                                  // 000000006D50: BF84FE37
	s_waitcnt lgkmcnt(0)                                       // 000000006D54: BF8CC07F
	s_barrier                                                  // 000000006D58: BF8A0000
	v_mfma_f32_16x16x16_bf16 v[56:59], a[72:73], a[0:1], 0     // 000000006D5C: D3E10038 1A020148
	v_mul_f32_e32 v132, s47, v132                              // 000000006D64: 0B09082F
	v_mul_f32_e32 v133, s47, v133                              // 000000006D68: 0B0B0A2F
	v_mul_f32_e32 v134, s47, v134                              // 000000006D6C: 0B0D0C2F
	v_mul_f32_e32 v135, s47, v135                              // 000000006D70: 0B0F0E2F
	v_mfma_f32_16x16x16_bf16 v[56:59], a[74:75], a[2:3], v[56:59]// 000000006D74: D3E10038 1CE2054A
	ds_write_b32 v11, v44 offset:13056                         // 000000006D7C: D81A3300 00002C0B
	ds_write_b32 v11, v45 offset:14112                         // 000000006D84: D81A3720 00002D0B
	ds_write_b32 v11, v46 offset:15232                         // 000000006D8C: D81A3B80 00002E0B
	v_mfma_f32_16x16x16_bf16 v[56:59], a[76:77], a[4:5], v[56:59]// 000000006D94: D3E10038 1CE2094C
	v_mul_f32_e32 v136, s47, v136                              // 000000006D9C: 0B11102F
	v_mul_f32_e32 v137, s47, v137                              // 000000006DA0: 0B13122F
	v_mul_f32_e32 v138, s47, v138                              // 000000006DA4: 0B15142F
	v_mul_f32_e32 v139, s47, v139                              // 000000006DA8: 0B17162F
	v_mfma_f32_16x16x16_bf16 v[56:59], a[78:79], a[6:7], v[56:59]// 000000006DAC: D3E10038 1CE20D4E
	ds_write_b32 v11, v47 offset:16288                         // 000000006DB4: D81A3FA0 00002F0B
	ds_write_b32 v11, v48 offset:17408                         // 000000006DBC: D81A4400 0000300B
	ds_write_b32 v11, v49 offset:18464                         // 000000006DC4: D81A4820 0000310B
	v_mfma_f32_16x16x16_bf16 v[56:59], a[80:81], a[8:9], v[56:59]// 000000006DCC: D3E10038 1CE21150
	v_mul_f32_e32 v140, s47, v140                              // 000000006DD4: 0B19182F
	v_mul_f32_e32 v141, s47, v141                              // 000000006DD8: 0B1B1A2F
	v_mul_f32_e32 v142, s47, v142                              // 000000006DDC: 0B1D1C2F
	v_mul_f32_e32 v143, s47, v143                              // 000000006DE0: 0B1F1E2F
	v_mfma_f32_16x16x16_bf16 v[56:59], a[82:83], a[10:11], v[56:59]// 000000006DE4: D3E10038 1CE21552
	ds_write_b64 v20, v[132:133] offset:28416                  // 000000006DEC: D89A6F00 00008414
	ds_write_b64 v20, v[134:135] offset:28928                  // 000000006DF4: D89A7100 00008614
	v_mfma_f32_16x16x16_bf16 v[56:59], a[84:85], a[12:13], v[56:59]// 000000006DFC: D3E10038 1CE21954
	ds_write_b64 v20, v[136:137] offset:29440                  // 000000006E04: D89A7300 00008814
	ds_write_b64 v20, v[138:139] offset:29952                  // 000000006E0C: D89A7500 00008A14
	v_mfma_f32_16x16x16_bf16 v[56:59], a[86:87], a[14:15], v[56:59]// 000000006E14: D3E10038 1CE21D56
	ds_write_b64 v20, v[140:141] offset:30464                  // 000000006E1C: D89A7700 00008C14
	ds_write_b64 v20, v[142:143] offset:30976                  // 000000006E24: D89A7900 00008E14
	v_mfma_f32_16x16x16_bf16 v[56:59], a[88:89], a[16:17], v[56:59]// 000000006E2C: D3E10038 1CE22158
	ds_read_b128 v[104:107], v12 offset:19584                  // 000000006E34: D9FE4C80 6800000C
	v_mfma_f32_16x16x16_bf16 v[56:59], a[90:91], a[18:19], v[56:59]// 000000006E3C: D3E10038 1CE2255A
	ds_read_b128 v[108:111], v12 offset:20096                  // 000000006E44: D9FE4E80 6C00000C
	v_mfma_f32_16x16x16_bf16 v[56:59], a[92:93], a[20:21], v[56:59]// 000000006E4C: D3E10038 1CE2295C
	ds_read_b128 v[112:115], v12 offset:21760                  // 000000006E54: D9FE5500 7000000C
	ds_read_b128 v[116:119], v12 offset:22272                  // 000000006E5C: D9FE5700 7400000C
	v_mfma_f32_16x16x16_bf16 v[56:59], a[94:95], a[22:23], v[56:59]// 000000006E64: D3E10038 1CE22D5E
	ds_read_b128 v[120:123], v12 offset:23936                  // 000000006E6C: D9FE5D80 7800000C
	ds_read_b128 v[124:127], v12 offset:24448                  // 000000006E74: D9FE5F80 7C00000C
	s_cmp_lt_i32 s99, 64                                       // 000000006E7C: BF04C063
	s_cbranch_scc0 label_0BB0                                  // 000000006E80: BF84000F
	v_and_b32_e32 v28, 15, v0                                  // 000000006E84: 2638008F
	v_mul_i32_i24_e64 v29, s46, 16                             // 000000006E88: D106001D 0001202E
	v_add_u32_e32 v28, v28, v29                                // 000000006E90: 68383B1C
	v_cmp_lt_u32_e64 s[60:61], v28, s99                        // 000000006E94: D0C9003C 0000C71C
	s_nop 1                                                    // 000000006E9C: BF800001
	v_cndmask_b32_e64 v56, v159, v56, s[60:61]                 // 000000006EA0: D1000038 00F2719F
	v_cndmask_b32_e64 v57, v159, v57, s[60:61]                 // 000000006EA8: D1000039 00F2739F
	v_cndmask_b32_e64 v58, v159, v58, s[60:61]                 // 000000006EB0: D100003A 00F2759F
	v_cndmask_b32_e64 v59, v159, v59, s[60:61]                 // 000000006EB8: D100003B 00F2779F

0000000000006ec0 <label_0BB0>:
	s_waitcnt lgkmcnt(6)                                       // 000000006EC0: BF8CC67F
	s_barrier                                                  // 000000006EC4: BF8A0000
	v_mfma_f32_16x16x16_bf16 v[64:67], v[80:81], a[48:49], 0   // 000000006EC8: D3E10040 12026150
	v_fma_f32 v56, v56, s57, -v128                             // 000000006ED0: D1CB0038 86007338
	v_fma_f32 v57, v57, s57, -v129                             // 000000006ED8: D1CB0039 86047339
	v_fma_f32 v58, v58, s57, -v130                             // 000000006EE0: D1CB003A 8608733A
	v_fma_f32 v59, v59, s57, -v131                             // 000000006EE8: D1CB003B 860C733B
	v_mfma_f32_16x16x16_bf16 v[64:67], v[82:83], a[50:51], v[64:67]// 000000006EF0: D3E10040 15026552
	ds_read_b128 a[72:75], v12 offset:6528                     // 000000006EF8: DBFE1980 4800000C
	ds_read_b128 a[76:79], v12 offset:7040                     // 000000006F00: DBFE1B80 4C00000C
	ds_write_b32 v11, v32                                      // 000000006F08: D81A0000 0000200B
	ds_write_b32 v11, v33 offset:1056                          // 000000006F10: D81A0420 0000210B
	v_mfma_f32_16x16x16_bf16 v[64:67], v[84:85], a[52:53], v[64:67]// 000000006F18: D3E10040 15026954
	v_exp_f32_e32 v56, v56                                     // 000000006F20: 7E704138
	v_mfma_f32_16x16x16_bf16 v[64:67], v[86:87], a[54:55], v[64:67]// 000000006F24: D3E10040 15026D56
	ds_read_b128 a[80:83], v12 offset:8704                     // 000000006F2C: DBFE2200 5000000C
	ds_read_b128 a[84:87], v12 offset:9216                     // 000000006F34: DBFE2400 5400000C
	ds_write_b32 v11, v34 offset:2176                          // 000000006F3C: D81A0880 0000220B
	v_mfma_f32_16x16x16_bf16 v[64:67], v[88:89], a[56:57], v[64:67]// 000000006F44: D3E10040 15027158
	v_exp_f32_e32 v57, v57                                     // 000000006F4C: 7E724139
	v_mfma_f32_16x16x16_bf16 v[64:67], v[90:91], a[58:59], v[64:67]// 000000006F50: D3E10040 1502755A
	ds_read_b128 a[88:91], v12 offset:10880                    // 000000006F58: DBFE2A80 5800000C
	ds_read_b128 a[92:95], v12 offset:11392                    // 000000006F60: DBFE2C80 5C00000C
	ds_write_b32 v11, v35 offset:3232                          // 000000006F68: D81A0CA0 0000230B
	v_mfma_f32_16x16x16_bf16 v[64:67], v[92:93], a[60:61], v[64:67]// 000000006F70: D3E10040 1502795C
	v_exp_f32_e32 v58, v58                                     // 000000006F78: 7E74413A
	v_mfma_f32_16x16x16_bf16 v[64:67], v[94:95], a[62:63], v[64:67]// 000000006F7C: D3E10040 15027D5E
	ds_read_b64 v[144:145], v19 offset:28416                   // 000000006F84: D8EC6F00 90000013
	ds_read_b64 v[146:147], v19 offset:30464                   // 000000006F8C: D8EC7700 92000013
	ds_read_b64 v[148:149], v19 offset:32512                   // 000000006F94: D8EC7F00 94000013
	ds_write_b32 v11, v36 offset:4352                          // 000000006F9C: D81A1100 0000240B
	v_mfma_f32_16x16x16_bf16 v[64:67], v[96:97], a[64:65], v[64:67]// 000000006FA4: D3E10040 15028160
	v_exp_f32_e32 v59, v59                                     // 000000006FAC: 7E76413B
	v_mfma_f32_16x16x16_bf16 v[64:67], v[98:99], a[66:67], v[64:67]// 000000006FB0: D3E10040 15028562
	ds_read_b64 v[150:151], v19 offset:34560                   // 000000006FB8: D8EC8700 96000013
	ds_read_b64 v[152:153], v19 offset:36608                   // 000000006FC0: D8EC8F00 98000013
	ds_read_b64 v[154:155], v19 offset:38656                   // 000000006FC8: D8EC9700 9A000013
	ds_write_b32 v11, v37 offset:5408                          // 000000006FD0: D81A1520 0000250B
	v_mfma_f32_16x16x16_bf16 v[64:67], v[100:101], a[68:69], v[64:67]// 000000006FD8: D3E10040 15028964
	v_perm_b32 v156, v57, v56, s64                             // 000000006FE0: D1ED009C 01027139
	v_mfma_f32_16x16x16_bf16 v[64:67], v[102:103], a[70:71], v[64:67]// 000000006FE8: D3E10040 15028D66
	v_perm_b32 v157, v59, v58, s64                             // 000000006FF0: D1ED009D 0102753B
	v_add_u32_e32 v7, s66, v7                                  // 000000006FF8: 680E0E42
	v_add_u32_e32 v8, s66, v8                                  // 000000006FFC: 68101042
	s_waitcnt lgkmcnt(0)                                       // 000000007000: BF8CC07F
	s_barrier                                                  // 000000007004: BF8A0000
	v_mfma_f32_16x16x16_bf16 v[160:163], v[104:105], v[156:157], v[160:163]// 000000007008: D3E100A0 06833968
	v_subrev_f32_dpp v64, v158, v64 quad_perm:[0,0,0,0] row_mask:0xf bank_mask:0xf// 000000007010: 068080FA FF00009E
	v_subrev_f32_dpp v65, v158, v65 quad_perm:[1,1,1,1] row_mask:0xf bank_mask:0xf// 000000007018: 068282FA FF00559E
	buffer_atomic_add_f32 v144, v7, s[32:35], 0 offen          // 000000007020: E1341000 80089007
	v_mfma_f32_16x16x16_bf16 v[164:167], v[106:107], v[156:157], v[164:167]// 000000007028: D3E100A4 0693396A
	v_subrev_f32_dpp v66, v158, v66 quad_perm:[2,2,2,2] row_mask:0xf bank_mask:0xf// 000000007030: 068484FA FF00AA9E
	v_subrev_f32_dpp v67, v158, v67 quad_perm:[3,3,3,3] row_mask:0xf bank_mask:0xf// 000000007038: 068686FA FF00FF9E
	buffer_atomic_add_f32 v145, v8, s[32:35], 0 offen          // 000000007040: E1341000 80089108
	v_mfma_f32_16x16x16_bf16 v[168:171], v[108:109], v[156:157], v[168:171]// 000000007048: D3E100A8 06A3396C
	v_mul_f32_e32 v64, v56, v64                                // 000000007050: 0A808138
	v_mul_f32_e32 v65, v57, v65                                // 000000007054: 0A828339
	buffer_atomic_add_f32 v146, v7, s[32:35], 0 offen offset:128// 000000007058: E1341080 80089207
	v_mfma_f32_16x16x16_bf16 v[172:175], v[110:111], v[156:157], v[172:175]// 000000007060: D3E100AC 06B3396E
	v_mul_f32_e32 v66, v58, v66                                // 000000007068: 0A84853A
	v_mul_f32_e32 v67, v59, v67                                // 00000000706C: 0A86873B
	buffer_atomic_add_f32 v147, v8, s[32:35], 0 offen offset:128// 000000007070: E1341080 80089308
	v_mfma_f32_16x16x16_bf16 v[176:179], v[112:113], v[156:157], v[176:179]// 000000007078: D3E100B0 06C33970
	v_perm_b32 v64, v65, v64, s64                              // 000000007080: D1ED0040 01028141
	v_mfma_f32_16x16x16_bf16 v[180:183], v[114:115], v[156:157], v[180:183]// 000000007088: D3E100B4 06D33972
	v_perm_b32 v65, v67, v66, s64                              // 000000007090: D1ED0041 01028543
	v_mfma_f32_16x16x16_bf16 v[184:187], v[116:117], v[156:157], v[184:187]// 000000007098: D3E100B8 06E33974
	v_mov_b32_dpp v16, v64 quad_perm:[1,0,3,2] row_mask:0xf bank_mask:0xf// 0000000070A0: 7E2002FA FF00B140
	v_perm_b32 v56, v16, v64, v15                              // 0000000070A8: D1ED0038 043E8110
	buffer_atomic_add_f32 v148, v7, s[32:35], 0 offen offset:256// 0000000070B0: E1341100 80089407
	v_mfma_f32_16x16x16_bf16 v[188:191], v[118:119], v[156:157], v[188:191]// 0000000070B8: D3E100BC 06F33976
	v_mov_b32_dpp v16, v65 quad_perm:[1,0,3,2] row_mask:0xf bank_mask:0xf// 0000000070C0: 7E2002FA FF00B141
	v_perm_b32 v57, v16, v65, v15                              // 0000000070C8: D1ED0039 043E8310
	buffer_atomic_add_f32 v149, v8, s[32:35], 0 offen offset:256// 0000000070D0: E1341100 80089508
	v_mfma_f32_16x16x16_bf16 v[192:195], v[120:121], v[156:157], v[192:195]// 0000000070D8: D3E100C0 07033978
	ds_write_b32 v13, v68 offset:6528                          // 0000000070E0: D81A1980 0000440D
	ds_write_b32 v13, v69 offset:7584                          // 0000000070E8: D81A1DA0 0000450D
	v_mfma_f32_16x16x16_bf16 v[196:199], v[122:123], v[156:157], v[196:199]// 0000000070F0: D3E100C4 0713397A
	ds_write_b32 v18, v56 offset:26112                         // 0000000070F8: D81A6600 00003812
	ds_write_b32 v18, v57 offset:26656                         // 000000007100: D81A6820 00003912
	v_mfma_f32_16x16x16_bf16 v[200:203], v[124:125], v[156:157], v[200:203]// 000000007108: D3E100C8 0723397C
	ds_write_b32 v13, v70 offset:8704                          // 000000007110: D81A2200 0000460D
	ds_write_b32 v13, v71 offset:9760                          // 000000007118: D81A2620 0000470D
	v_mfma_f32_16x16x16_bf16 v[204:207], v[126:127], v[156:157], v[204:207]// 000000007120: D3E100CC 0733397E
	ds_write_b32 v13, v72 offset:10880                         // 000000007128: D81A2A80 0000480D
	ds_write_b32 v13, v73 offset:11936                         // 000000007130: D81A2EA0 0000490D
	s_barrier                                                  // 000000007138: BF8A0000
	v_mfma_f32_16x16x16_bf16 a[96:99], a[72:73], v[64:65], a[96:99]// 00000000713C: D3E18060 0D828148
	ds_read_b32 v128, v21 offset:40704                         // 000000007144: D86C9F00 80000015
	ds_read_b32 v158, v21 offset:40960                         // 00000000714C: D86CA000 9E000015
	v_mfma_f32_16x16x16_bf16 a[100:103], a[74:75], v[64:65], a[100:103]// 000000007154: D3E18064 0D92814A
	buffer_atomic_add_f32 v150, v7, s[32:35], 0 offen offset:384// 00000000715C: E1341180 80089607
	buffer_atomic_add_f32 v151, v8, s[32:35], 0 offen offset:384// 000000007164: E1341180 80089708
	v_mfma_f32_16x16x16_bf16 a[104:107], a[76:77], v[64:65], a[104:107]// 00000000716C: D3E18068 0DA2814C
	s_waitcnt lgkmcnt(6)                                       // 000000007174: BF8CC67F
	s_barrier                                                  // 000000007178: BF8A0000
	v_mfma_f32_16x16x16_bf16 a[108:111], a[78:79], v[64:65], a[108:111]// 00000000717C: D3E1806C 0DB2814E
	s_mov_b64 exec, s[92:93]                                   // 000000007184: BEFE015C
	buffer_atomic_add_f32 v152, v7, s[32:35], 0 offen offset:512// 000000007188: E1341200 80089807
	s_mov_b64 exec, s[86:87]                                   // 000000007190: BEFE0156
	v_mfma_f32_16x16x16_bf16 a[112:115], a[80:81], v[64:65], a[112:115]// 000000007194: D3E18070 0DC28150
	ds_read_b128 v[56:59], v17 offset:26112                    // 00000000719C: D9FE6600 38000011
	v_mfma_f32_16x16x16_bf16 a[116:119], a[82:83], v[64:65], a[116:119]// 0000000071A4: D3E18074 0DD28152
	s_mov_b64 exec, s[92:93]                                   // 0000000071AC: BEFE015C
	buffer_atomic_add_f32 v153, v8, s[32:35], 0 offen offset:512// 0000000071B0: E1341200 80089908
	s_mov_b64 exec, s[86:87]                                   // 0000000071B8: BEFE0156
	v_mfma_f32_16x16x16_bf16 a[120:123], a[84:85], v[64:65], a[120:123]// 0000000071BC: D3E18078 0DE28154
	ds_read_b128 v[60:63], v17 offset:27264                    // 0000000071C4: D9FE6A80 3C000011
	v_mfma_f32_16x16x16_bf16 a[124:127], a[86:87], v[64:65], a[124:127]// 0000000071CC: D3E1807C 0DF28156
	s_mov_b64 exec, s[94:95]                                   // 0000000071D4: BEFE015E
	buffer_atomic_add_f32 v154, v7, s[32:35], 0 offen offset:640// 0000000071D8: E1341280 80089A07
	s_mov_b64 exec, s[86:87]                                   // 0000000071E0: BEFE0156
	v_mfma_f32_16x16x16_bf16 a[128:131], a[88:89], v[64:65], a[128:131]// 0000000071E4: D3E18080 0E028158
	ds_write_b32 v13, v74 offset:19584                         // 0000000071EC: D81A4C80 00004A0D
	ds_write_b32 v13, v75 offset:20640                         // 0000000071F4: D81A50A0 00004B0D
	v_mfma_f32_16x16x16_bf16 a[132:135], a[90:91], v[64:65], a[132:135]// 0000000071FC: D3E18084 0E12815A
	s_mov_b64 exec, s[94:95]                                   // 000000007204: BEFE015E
	buffer_atomic_add_f32 v155, v8, s[32:35], 0 offen offset:640// 000000007208: E1341280 80089B08
	s_mov_b64 exec, s[86:87]                                   // 000000007210: BEFE0156
	v_mfma_f32_16x16x16_bf16 a[136:139], a[92:93], v[64:65], a[136:139]// 000000007214: D3E18088 0E22815C
	ds_write_b32 v13, v76 offset:21760                         // 00000000721C: D81A5500 00004C0D
	ds_write_b32 v13, v77 offset:22816                         // 000000007224: D81A5920 00004D0D
	v_mfma_f32_16x16x16_bf16 a[140:143], a[94:95], v[64:65], a[140:143]// 00000000722C: D3E1808C 0E32815E
	ds_write_b32 v13, v78 offset:23936                         // 000000007234: D81A5D80 00004E0D
	ds_write_b32 v13, v79 offset:24992                         // 00000000723C: D81A61A0 00004F0D
	s_waitcnt vmcnt(12) lgkmcnt(6)                             // 000000007244: BF8C067C
	s_barrier                                                  // 000000007248: BF8A0000
	v_mfma_f32_16x16x16_bf16 v[132:135], v[56:57], a[24:25], 0 // 00000000724C: D3E10084 12023138
	ds_read_b128 a[72:75], v10                                 // 000000007254: DBFE0000 4800000A
	ds_read_b128 a[76:79], v10 offset:512                      // 00000000725C: DBFE0200 4C00000A
	ds_read_b128 a[80:83], v10 offset:2176                     // 000000007264: DBFE0880 5000000A
	buffer_load_dword v32, v1, s[8:11], 0 idxen                // 00000000726C: E0502000 80022001
	buffer_load_dword v33, v2, s[8:11], 0 idxen                // 000000007274: E0502000 80022102
	v_mfma_f32_16x16x16_bf16 v[132:135], v[58:59], a[30:31], v[132:135]// 00000000727C: D3E10084 16123D3A
	v_mul_f32_e32 v128, s48, v128                              // 000000007284: 0B010030
	v_perm_b32 v68, v39, v38, s63                              // 000000007288: D1ED0044 00FE4D27
	v_perm_b32 v69, v39, v38, s64                              // 000000007290: D1ED0045 01024D27
	v_perm_b32 v70, v41, v40, s63                              // 000000007298: D1ED0046 00FE5129
	v_mfma_f32_16x16x16_bf16 v[132:135], v[60:61], a[36:37], v[132:135]// 0000000072A0: D3E10084 1612493C
	ds_read_b128 a[84:87], v10 offset:2688                     // 0000000072A8: DBFE0A80 5400000A
	ds_read_b128 a[88:91], v10 offset:4352                     // 0000000072B0: DBFE1100 5800000A
	ds_read_b128 a[92:95], v10 offset:4864                     // 0000000072B8: DBFE1300 5C00000A
	buffer_load_dword v34, v1, s[8:11], 0 idxen offset:128     // 0000000072C0: E0502080 80022201
	buffer_load_dword v35, v2, s[8:11], 0 idxen offset:128     // 0000000072C8: E0502080 80022302
	v_mfma_f32_16x16x16_bf16 v[132:135], v[62:63], a[42:43], v[132:135]// 0000000072D0: D3E10084 1612553E
	v_perm_b32 v71, v41, v40, s64                              // 0000000072D8: D1ED0047 01025129
	v_perm_b32 v72, v43, v42, s63                              // 0000000072E0: D1ED0048 00FE552B
	v_perm_b32 v73, v43, v42, s64                              // 0000000072E8: D1ED0049 0102552B
	v_mfma_f32_16x16x16_bf16 v[136:139], v[56:57], a[26:27], 0 // 0000000072F0: D3E10088 12023538
	ds_read_b128 v[80:83], v10 offset:13056                    // 0000000072F8: D9FE3300 5000000A
	ds_read_b128 v[84:87], v10 offset:13568                    // 000000007300: D9FE3500 5400000A
	ds_read_b128 v[88:91], v10 offset:15232                    // 000000007308: D9FE3B80 5800000A
	buffer_load_dword v44, v212, s[20:23], 0 idxen             // 000000007310: E0502000 80052CD4
	buffer_load_dword v45, v213, s[20:23], 0 idxen             // 000000007318: E0502000 80052DD5
	v_mfma_f32_16x16x16_bf16 v[136:139], v[58:59], a[32:33], v[136:139]// 000000007320: D3E10088 1622413A
	v_perm_b32 v74, v51, v50, s63                              // 000000007328: D1ED004A 00FE6533
	v_perm_b32 v75, v51, v50, s64                              // 000000007330: D1ED004B 01026533
	v_perm_b32 v76, v53, v52, s63                              // 000000007338: D1ED004C 00FE6935
	v_mov_b32_dpp v131, v128 quad_perm:[3,3,3,3] row_mask:0xf bank_mask:0xf// 000000007340: 7F0602FA FF00FF80
	v_mov_b32_dpp v130, v128 quad_perm:[2,2,2,2] row_mask:0xf bank_mask:0xf// 000000007348: 7F0402FA FF00AA80
	v_mfma_f32_16x16x16_bf16 v[136:139], v[60:61], a[38:39], v[136:139]// 000000007350: D3E10088 16224D3C
	ds_read_b128 v[92:95], v10 offset:15744                    // 000000007358: D9FE3D80 5C00000A
	ds_read_b128 v[96:99], v10 offset:17408                    // 000000007360: D9FE4400 6000000A
	ds_read_b128 v[100:103], v10 offset:17920                  // 000000007368: D9FE4600 6400000A
	buffer_load_dword v46, v212, s[20:23], 0 idxen offset:128  // 000000007370: E0502080 80052ED4
	buffer_load_dword v47, v213, s[20:23], 0 idxen offset:128  // 000000007378: E0502080 80052FD5
	v_mfma_f32_16x16x16_bf16 v[136:139], v[62:63], a[44:45], v[136:139]// 000000007380: D3E10088 1622593E
	v_perm_b32 v77, v53, v52, s64                              // 000000007388: D1ED004D 01026935
	v_perm_b32 v78, v55, v54, s63                              // 000000007390: D1ED004E 00FE6D37
	v_perm_b32 v79, v55, v54, s64                              // 000000007398: D1ED004F 01026D37
	v_mov_b32_dpp v129, v128 quad_perm:[1,1,1,1] row_mask:0xf bank_mask:0xf// 0000000073A0: 7F0202FA FF005580
	v_mov_b32_dpp v128, v128 quad_perm:[0,0,0,0] row_mask:0xf bank_mask:0xf// 0000000073A8: 7F0002FA FF000080
	v_mfma_f32_16x16x16_bf16 v[140:143], v[56:57], a[28:29], 0 // 0000000073B0: D3E1008C 12023938
	buffer_load_dword v9, s[24:27], 0 idxen lds                // 0000000073B8: E0512000 80060009
	v_mov_b32_e32 v36, 0                                       // 0000000073C0: 7E480280
	s_mov_b64 exec, s[88:89]                                   // 0000000073C4: BEFE0158
	buffer_load_dword v36, v1, s[8:11], 0 idxen offset:256     // 0000000073C8: E0502100 80022401
	s_mov_b64 exec, s[86:87]                                   // 0000000073D0: BEFE0156
	v_mov_b32_e32 v37, 0                                       // 0000000073D4: 7E4A0280
	s_mov_b64 exec, s[88:89]                                   // 0000000073D8: BEFE0158
	buffer_load_dword v37, v2, s[8:11], 0 idxen offset:256     // 0000000073DC: E0502100 80022502
	s_mov_b64 exec, s[86:87]                                   // 0000000073E4: BEFE0156
	v_mfma_f32_16x16x16_bf16 v[140:143], v[58:59], a[34:35], v[140:143]// 0000000073E8: D3E1008C 1632453A
	s_add_u32 s60, 64, s59                                     // 0000000073F0: 803C3BC0
	s_cmp_lt_u32 s60, s58                                      // 0000000073F4: BF0A3A3C
	s_cselect_b32 s68, s68, 0                                  // 0000000073F8: 85448044
	s_cselect_b32 s97, s97, 0                                  // 0000000073FC: 85618061
	s_cselect_b32 s69, s69, 0                                  // 000000007400: 85458045
	v_mfma_f32_16x16x16_bf16 v[140:143], v[60:61], a[40:41], v[140:143]// 000000007404: D3E1008C 1632513C
	v_mov_b32_e32 v48, 0                                       // 00000000740C: 7E600280
	s_mov_b64 exec, s[88:89]                                   // 000000007410: BEFE0158
	buffer_load_dword v48, v212, s[20:23], 0 idxen offset:256  // 000000007414: E0502100 800530D4
	s_mov_b64 exec, s[86:87]                                   // 00000000741C: BEFE0156
	v_mov_b32_e32 v49, 0                                       // 000000007420: 7E620280
	s_mov_b64 exec, s[88:89]                                   // 000000007424: BEFE0158
	buffer_load_dword v49, v213, s[20:23], 0 idxen offset:256  // 000000007428: E0502100 800531D5
	s_mov_b64 exec, s[86:87]                                   // 000000007430: BEFE0156
	v_add_u32_e32 v1, s68, v1                                  // 000000007434: 68020244
	v_add_u32_e32 v2, s68, v2                                  // 000000007438: 68040444
	v_add_u32_e32 v212, s97, v212                              // 00000000743C: 69A9A861
	v_add_u32_e32 v213, s97, v213                              // 000000007440: 69ABAA61
	s_mov_b32 m0, s77                                          // 000000007444: BEFC004D
	v_add_u32_e32 v9, s69, v9                                  // 000000007448: 68121245
	v_mfma_f32_16x16x16_bf16 v[140:143], v[62:63], a[46:47], v[140:143]// 00000000744C: D3E1008C 16325D3E
	s_cmp_ge_u32 s59, 16                                       // 000000007454: BF09903B
	s_cselect_b32 s66, s67, s66                                // 000000007458: 85424243
	s_addk_i32 s59, 0x10                                       // 00000000745C: B73B0010
	s_nop 0                                                    // 000000007460: BF800000
	s_cmp_lt_i32 s59, s58                                      // 000000007464: BF043A3B
	s_cbranch_scc0 label_098C                                  // 000000007468: BF84FC71
	s_branch label_098F                                        // 00000000746C: BF82FC73

0000000000007470 <label_0D1C>:
	v_add_u32_e32 v7, s66, v7                                  // 000000007470: 680E0E42
	v_add_u32_e32 v8, s66, v8                                  // 000000007474: 68101042
	v_lshrrev_b32_e32 v28, 5, v0                               // 000000007478: 20380085
	v_mul_i32_i24_e32 v25, 0x44, v28                           // 00000000747C: 0C3238FF 00000044
	v_and_b32_e32 v28, 31, v0                                  // 000000007484: 2638009F
	v_mul_i32_i24_e32 v29, 2, v28                              // 000000007488: 0C3A3882
	v_add_u32_e32 v25, v29, v25                                // 00000000748C: 6832331D
	s_mul_i32 s60, s46, 0x660                                  // 000000007490: 923CFF2E 00000660
	v_add_u32_e32 v25, s60, v25                                // 000000007498: 6832323C
	v_lshlrev_b32_e32 v25, 2, v25                              // 00000000749C: 24323282
	v_mul_f32_e32 v132, s47, v132                              // 0000000074A0: 0B09082F
	v_mul_f32_e32 v133, s47, v133                              // 0000000074A4: 0B0B0A2F
	v_mul_f32_e32 v134, s47, v134                              // 0000000074A8: 0B0D0C2F
	v_mul_f32_e32 v135, s47, v135                              // 0000000074AC: 0B0F0E2F
	v_mul_f32_e32 v136, s47, v136                              // 0000000074B0: 0B11102F
	v_mul_f32_e32 v137, s47, v137                              // 0000000074B4: 0B13122F
	v_mul_f32_e32 v138, s47, v138                              // 0000000074B8: 0B15142F
	v_mul_f32_e32 v139, s47, v139                              // 0000000074BC: 0B17162F
	v_mul_f32_e32 v140, s47, v140                              // 0000000074C0: 0B19182F
	v_mul_f32_e32 v141, s47, v141                              // 0000000074C4: 0B1B1A2F
	v_mul_f32_e32 v142, s47, v142                              // 0000000074C8: 0B1D1C2F
	v_mul_f32_e32 v143, s47, v143                              // 0000000074CC: 0B1F1E2F
	ds_write_b64 v20, v[132:133] offset:28416                  // 0000000074D0: D89A6F00 00008414
	ds_write_b64 v20, v[134:135] offset:28928                  // 0000000074D8: D89A7100 00008614
	ds_write_b64 v20, v[136:137] offset:29440                  // 0000000074E0: D89A7300 00008814
	ds_write_b64 v20, v[138:139] offset:29952                  // 0000000074E8: D89A7500 00008A14
	ds_write_b64 v20, v[140:141] offset:30464                  // 0000000074F0: D89A7700 00008C14
	ds_write_b64 v20, v[142:143] offset:30976                  // 0000000074F8: D89A7900 00008E14
	s_waitcnt lgkmcnt(0)                                       // 000000007500: BF8CC07F
	s_barrier                                                  // 000000007504: BF8A0000
	ds_read_b64 v[144:145], v19 offset:28416                   // 000000007508: D8EC6F00 90000013
	ds_read_b64 v[146:147], v19 offset:30464                   // 000000007510: D8EC7700 92000013
	ds_read_b64 v[148:149], v19 offset:32512                   // 000000007518: D8EC7F00 94000013
	ds_read_b64 v[150:151], v19 offset:34560                   // 000000007520: D8EC8700 96000013
	ds_read_b64 v[152:153], v19 offset:36608                   // 000000007528: D8EC8F00 98000013
	ds_read_b64 v[154:155], v19 offset:38656                   // 000000007530: D8EC9700 9A000013
	s_waitcnt lgkmcnt(0)                                       // 000000007538: BF8CC07F
	s_barrier                                                  // 00000000753C: BF8A0000
	buffer_atomic_add_f32 v144, v7, s[32:35], 0 offen          // 000000007540: E1341000 80089007
	buffer_atomic_add_f32 v145, v8, s[32:35], 0 offen          // 000000007548: E1341000 80089108
	buffer_atomic_add_f32 v146, v7, s[32:35], 0 offen offset:128// 000000007550: E1341080 80089207
	buffer_atomic_add_f32 v147, v8, s[32:35], 0 offen offset:128// 000000007558: E1341080 80089308
	buffer_atomic_add_f32 v148, v7, s[32:35], 0 offen offset:256// 000000007560: E1341100 80089407
	buffer_atomic_add_f32 v149, v8, s[32:35], 0 offen offset:256// 000000007568: E1341100 80089508
	buffer_atomic_add_f32 v150, v7, s[32:35], 0 offen offset:384// 000000007570: E1341180 80089607
	buffer_atomic_add_f32 v151, v8, s[32:35], 0 offen offset:384// 000000007578: E1341180 80089708
	s_mov_b64 exec, s[92:93]                                   // 000000007580: BEFE015C
	buffer_atomic_add_f32 v152, v7, s[32:35], 0 offen offset:512// 000000007584: E1341200 80089807
	s_mov_b64 exec, s[86:87]                                   // 00000000758C: BEFE0156
	s_mov_b64 exec, s[92:93]                                   // 000000007590: BEFE015C
	buffer_atomic_add_f32 v153, v8, s[32:35], 0 offen offset:512// 000000007594: E1341200 80089908
	s_mov_b64 exec, s[86:87]                                   // 00000000759C: BEFE0156
	s_mov_b64 exec, s[94:95]                                   // 0000000075A0: BEFE015E
	buffer_atomic_add_f32 v154, v7, s[32:35], 0 offen offset:640// 0000000075A4: E1341280 80089A07
	s_mov_b64 exec, s[86:87]                                   // 0000000075AC: BEFE0156
	s_mov_b64 exec, s[94:95]                                   // 0000000075B0: BEFE015E
	buffer_atomic_add_f32 v155, v8, s[32:35], 0 offen offset:640// 0000000075B4: E1341280 80089B08
	s_mov_b64 exec, s[86:87]                                   // 0000000075BC: BEFE0156
	v_lshrrev_b32_e32 v28, 3, v0                               // 0000000075C0: 20380083
	v_mul_i32_i24_e32 v24, 2, v28                              // 0000000075C4: 0C303882
	v_and_b32_e32 v28, 7, v0                                   // 0000000075C8: 26380087
	v_mul_i32_i24_e32 v29, 0x44, v28                           // 0000000075CC: 0C3A38FF 00000044
	v_add_u32_e32 v24, v29, v24                                // 0000000075D4: 6830311D
	s_mul_i32 s60, s46, 0x660                                  // 0000000075D8: 923CFF2E 00000660
	v_add_u32_e32 v24, s60, v24                                // 0000000075E0: 6830303C
	v_lshlrev_b32_e32 v24, 2, v24                              // 0000000075E4: 24303082
	v_accvgpr_read_b32 v30, a96                                // 0000000075E8: D3D8401E 18000160
	v_accvgpr_read_b32 v31, a97                                // 0000000075F0: D3D8401F 18000161
	v_mul_f32_e32 v30, s47, v30                                // 0000000075F8: 0A3C3C2F
	v_mul_f32_e32 v31, s47, v31                                // 0000000075FC: 0A3E3E2F
	v_cmp_u_f32_e64 s[74:75], v30, v30                         // 000000007600: D048004A 00023D1E
	v_bfe_u32 v208, v30, 16, 1                                 // 000000007608: D1C800D0 0205211E
	v_add3_u32 v208, v30, v208, v211                           // 000000007610: D1FF00D0 074FA11E
	v_cndmask_b32_e64 v28, v208, v210, s[74:75]                // 000000007618: D100001C 012BA5D0
	v_lshrrev_b32_e32 v28, 16, v28                             // 000000007620: 20383890
	v_cmp_u_f32_e64 s[74:75], v31, v31                         // 000000007624: D048004A 00023F1F
	v_bfe_u32 v208, v31, 16, 1                                 // 00000000762C: D1C800D0 0205211F
	v_add3_u32 v208, v31, v208, v211                           // 000000007634: D1FF00D0 074FA11F
	v_cndmask_b32_e64 v29, v208, v210, s[74:75]                // 00000000763C: D100001D 012BA5D0
	v_and_or_b32 v56, v29, v209, v28                           // 000000007644: D2010038 0473A31D
	v_accvgpr_read_b32 v30, a98                                // 00000000764C: D3D8401E 18000162
	v_accvgpr_read_b32 v31, a99                                // 000000007654: D3D8401F 18000163
	v_mul_f32_e32 v30, s47, v30                                // 00000000765C: 0A3C3C2F
	v_mul_f32_e32 v31, s47, v31                                // 000000007660: 0A3E3E2F
	v_cmp_u_f32_e64 s[74:75], v30, v30                         // 000000007664: D048004A 00023D1E
	v_bfe_u32 v208, v30, 16, 1                                 // 00000000766C: D1C800D0 0205211E
	v_add3_u32 v208, v30, v208, v211                           // 000000007674: D1FF00D0 074FA11E
	v_cndmask_b32_e64 v28, v208, v210, s[74:75]                // 00000000767C: D100001C 012BA5D0
	v_lshrrev_b32_e32 v28, 16, v28                             // 000000007684: 20383890
	v_cmp_u_f32_e64 s[74:75], v31, v31                         // 000000007688: D048004A 00023F1F
	v_bfe_u32 v208, v31, 16, 1                                 // 000000007690: D1C800D0 0205211F
	v_add3_u32 v208, v31, v208, v211                           // 000000007698: D1FF00D0 074FA11F
	v_cndmask_b32_e64 v29, v208, v210, s[74:75]                // 0000000076A0: D100001D 012BA5D0
	v_and_or_b32 v57, v29, v209, v28                           // 0000000076A8: D2010039 0473A31D
	v_accvgpr_read_b32 v30, a100                               // 0000000076B0: D3D8401E 18000164
	v_accvgpr_read_b32 v31, a101                               // 0000000076B8: D3D8401F 18000165
	v_mul_f32_e32 v30, s47, v30                                // 0000000076C0: 0A3C3C2F
	v_mul_f32_e32 v31, s47, v31                                // 0000000076C4: 0A3E3E2F
	v_cmp_u_f32_e64 s[74:75], v30, v30                         // 0000000076C8: D048004A 00023D1E
	v_bfe_u32 v208, v30, 16, 1                                 // 0000000076D0: D1C800D0 0205211E
	v_add3_u32 v208, v30, v208, v211                           // 0000000076D8: D1FF00D0 074FA11E
	v_cndmask_b32_e64 v28, v208, v210, s[74:75]                // 0000000076E0: D100001C 012BA5D0
	v_lshrrev_b32_e32 v28, 16, v28                             // 0000000076E8: 20383890
	v_cmp_u_f32_e64 s[74:75], v31, v31                         // 0000000076EC: D048004A 00023F1F
	v_bfe_u32 v208, v31, 16, 1                                 // 0000000076F4: D1C800D0 0205211F
	v_add3_u32 v208, v31, v208, v211                           // 0000000076FC: D1FF00D0 074FA11F
	v_cndmask_b32_e64 v29, v208, v210, s[74:75]                // 000000007704: D100001D 012BA5D0
	v_and_or_b32 v58, v29, v209, v28                           // 00000000770C: D201003A 0473A31D
	v_accvgpr_read_b32 v30, a102                               // 000000007714: D3D8401E 18000166
	v_accvgpr_read_b32 v31, a103                               // 00000000771C: D3D8401F 18000167
	v_mul_f32_e32 v30, s47, v30                                // 000000007724: 0A3C3C2F
	v_mul_f32_e32 v31, s47, v31                                // 000000007728: 0A3E3E2F
	v_cmp_u_f32_e64 s[74:75], v30, v30                         // 00000000772C: D048004A 00023D1E
	v_bfe_u32 v208, v30, 16, 1                                 // 000000007734: D1C800D0 0205211E
	v_add3_u32 v208, v30, v208, v211                           // 00000000773C: D1FF00D0 074FA11E
	v_cndmask_b32_e64 v28, v208, v210, s[74:75]                // 000000007744: D100001C 012BA5D0
	v_lshrrev_b32_e32 v28, 16, v28                             // 00000000774C: 20383890
	v_cmp_u_f32_e64 s[74:75], v31, v31                         // 000000007750: D048004A 00023F1F
	v_bfe_u32 v208, v31, 16, 1                                 // 000000007758: D1C800D0 0205211F
	v_add3_u32 v208, v31, v208, v211                           // 000000007760: D1FF00D0 074FA11F
	v_cndmask_b32_e64 v29, v208, v210, s[74:75]                // 000000007768: D100001D 012BA5D0
	v_and_or_b32 v59, v29, v209, v28                           // 000000007770: D201003B 0473A31D
	v_accvgpr_read_b32 v30, a104                               // 000000007778: D3D8401E 18000168
	v_accvgpr_read_b32 v31, a105                               // 000000007780: D3D8401F 18000169
	v_mul_f32_e32 v30, s47, v30                                // 000000007788: 0A3C3C2F
	v_mul_f32_e32 v31, s47, v31                                // 00000000778C: 0A3E3E2F
	v_cmp_u_f32_e64 s[74:75], v30, v30                         // 000000007790: D048004A 00023D1E
	v_bfe_u32 v208, v30, 16, 1                                 // 000000007798: D1C800D0 0205211E
	v_add3_u32 v208, v30, v208, v211                           // 0000000077A0: D1FF00D0 074FA11E
	v_cndmask_b32_e64 v28, v208, v210, s[74:75]                // 0000000077A8: D100001C 012BA5D0
	v_lshrrev_b32_e32 v28, 16, v28                             // 0000000077B0: 20383890
	v_cmp_u_f32_e64 s[74:75], v31, v31                         // 0000000077B4: D048004A 00023F1F
	v_bfe_u32 v208, v31, 16, 1                                 // 0000000077BC: D1C800D0 0205211F
	v_add3_u32 v208, v31, v208, v211                           // 0000000077C4: D1FF00D0 074FA11F
	v_cndmask_b32_e64 v29, v208, v210, s[74:75]                // 0000000077CC: D100001D 012BA5D0
	v_and_or_b32 v60, v29, v209, v28                           // 0000000077D4: D201003C 0473A31D
	v_accvgpr_read_b32 v30, a106                               // 0000000077DC: D3D8401E 1800016A
	v_accvgpr_read_b32 v31, a107                               // 0000000077E4: D3D8401F 1800016B
	v_mul_f32_e32 v30, s47, v30                                // 0000000077EC: 0A3C3C2F
	v_mul_f32_e32 v31, s47, v31                                // 0000000077F0: 0A3E3E2F
	v_cmp_u_f32_e64 s[74:75], v30, v30                         // 0000000077F4: D048004A 00023D1E
	v_bfe_u32 v208, v30, 16, 1                                 // 0000000077FC: D1C800D0 0205211E
	v_add3_u32 v208, v30, v208, v211                           // 000000007804: D1FF00D0 074FA11E
	v_cndmask_b32_e64 v28, v208, v210, s[74:75]                // 00000000780C: D100001C 012BA5D0
	v_lshrrev_b32_e32 v28, 16, v28                             // 000000007814: 20383890
	v_cmp_u_f32_e64 s[74:75], v31, v31                         // 000000007818: D048004A 00023F1F
	v_bfe_u32 v208, v31, 16, 1                                 // 000000007820: D1C800D0 0205211F
	v_add3_u32 v208, v31, v208, v211                           // 000000007828: D1FF00D0 074FA11F
	v_cndmask_b32_e64 v29, v208, v210, s[74:75]                // 000000007830: D100001D 012BA5D0
	v_and_or_b32 v61, v29, v209, v28                           // 000000007838: D201003D 0473A31D
	v_accvgpr_read_b32 v30, a108                               // 000000007840: D3D8401E 1800016C
	v_accvgpr_read_b32 v31, a109                               // 000000007848: D3D8401F 1800016D
	v_mul_f32_e32 v30, s47, v30                                // 000000007850: 0A3C3C2F
	v_mul_f32_e32 v31, s47, v31                                // 000000007854: 0A3E3E2F
	v_cmp_u_f32_e64 s[74:75], v30, v30                         // 000000007858: D048004A 00023D1E
	v_bfe_u32 v208, v30, 16, 1                                 // 000000007860: D1C800D0 0205211E
	v_add3_u32 v208, v30, v208, v211                           // 000000007868: D1FF00D0 074FA11E
	v_cndmask_b32_e64 v28, v208, v210, s[74:75]                // 000000007870: D100001C 012BA5D0
	v_lshrrev_b32_e32 v28, 16, v28                             // 000000007878: 20383890
	v_cmp_u_f32_e64 s[74:75], v31, v31                         // 00000000787C: D048004A 00023F1F
	v_bfe_u32 v208, v31, 16, 1                                 // 000000007884: D1C800D0 0205211F
	v_add3_u32 v208, v31, v208, v211                           // 00000000788C: D1FF00D0 074FA11F
	v_cndmask_b32_e64 v29, v208, v210, s[74:75]                // 000000007894: D100001D 012BA5D0
	v_and_or_b32 v62, v29, v209, v28                           // 00000000789C: D201003E 0473A31D
	v_accvgpr_read_b32 v30, a110                               // 0000000078A4: D3D8401E 1800016E
	v_accvgpr_read_b32 v31, a111                               // 0000000078AC: D3D8401F 1800016F
	v_mul_f32_e32 v30, s47, v30                                // 0000000078B4: 0A3C3C2F
	v_mul_f32_e32 v31, s47, v31                                // 0000000078B8: 0A3E3E2F
	v_cmp_u_f32_e64 s[74:75], v30, v30                         // 0000000078BC: D048004A 00023D1E
	v_bfe_u32 v208, v30, 16, 1                                 // 0000000078C4: D1C800D0 0205211E
	v_add3_u32 v208, v30, v208, v211                           // 0000000078CC: D1FF00D0 074FA11E
	v_cndmask_b32_e64 v28, v208, v210, s[74:75]                // 0000000078D4: D100001C 012BA5D0
	v_lshrrev_b32_e32 v28, 16, v28                             // 0000000078DC: 20383890
	v_cmp_u_f32_e64 s[74:75], v31, v31                         // 0000000078E0: D048004A 00023F1F
	v_bfe_u32 v208, v31, 16, 1                                 // 0000000078E8: D1C800D0 0205211F
	v_add3_u32 v208, v31, v208, v211                           // 0000000078F0: D1FF00D0 074FA11F
	v_cndmask_b32_e64 v29, v208, v210, s[74:75]                // 0000000078F8: D100001D 012BA5D0
	v_and_or_b32 v63, v29, v209, v28                           // 000000007900: D201003F 0473A31D
	v_accvgpr_read_b32 v30, a112                               // 000000007908: D3D8401E 18000170
	v_accvgpr_read_b32 v31, a113                               // 000000007910: D3D8401F 18000171
	v_mul_f32_e32 v30, s47, v30                                // 000000007918: 0A3C3C2F
	v_mul_f32_e32 v31, s47, v31                                // 00000000791C: 0A3E3E2F
	v_cmp_u_f32_e64 s[74:75], v30, v30                         // 000000007920: D048004A 00023D1E
	v_bfe_u32 v208, v30, 16, 1                                 // 000000007928: D1C800D0 0205211E
	v_add3_u32 v208, v30, v208, v211                           // 000000007930: D1FF00D0 074FA11E
	v_cndmask_b32_e64 v28, v208, v210, s[74:75]                // 000000007938: D100001C 012BA5D0
	v_lshrrev_b32_e32 v28, 16, v28                             // 000000007940: 20383890
	v_cmp_u_f32_e64 s[74:75], v31, v31                         // 000000007944: D048004A 00023F1F
	v_bfe_u32 v208, v31, 16, 1                                 // 00000000794C: D1C800D0 0205211F
	v_add3_u32 v208, v31, v208, v211                           // 000000007954: D1FF00D0 074FA11F
	v_cndmask_b32_e64 v29, v208, v210, s[74:75]                // 00000000795C: D100001D 012BA5D0
	v_and_or_b32 v64, v29, v209, v28                           // 000000007964: D2010040 0473A31D
	v_accvgpr_read_b32 v30, a114                               // 00000000796C: D3D8401E 18000172
	v_accvgpr_read_b32 v31, a115                               // 000000007974: D3D8401F 18000173
	v_mul_f32_e32 v30, s47, v30                                // 00000000797C: 0A3C3C2F
	v_mul_f32_e32 v31, s47, v31                                // 000000007980: 0A3E3E2F
	v_cmp_u_f32_e64 s[74:75], v30, v30                         // 000000007984: D048004A 00023D1E
	v_bfe_u32 v208, v30, 16, 1                                 // 00000000798C: D1C800D0 0205211E
	v_add3_u32 v208, v30, v208, v211                           // 000000007994: D1FF00D0 074FA11E
	v_cndmask_b32_e64 v28, v208, v210, s[74:75]                // 00000000799C: D100001C 012BA5D0
	v_lshrrev_b32_e32 v28, 16, v28                             // 0000000079A4: 20383890
	v_cmp_u_f32_e64 s[74:75], v31, v31                         // 0000000079A8: D048004A 00023F1F
	v_bfe_u32 v208, v31, 16, 1                                 // 0000000079B0: D1C800D0 0205211F
	v_add3_u32 v208, v31, v208, v211                           // 0000000079B8: D1FF00D0 074FA11F
	v_cndmask_b32_e64 v29, v208, v210, s[74:75]                // 0000000079C0: D100001D 012BA5D0
	v_and_or_b32 v65, v29, v209, v28                           // 0000000079C8: D2010041 0473A31D
	v_accvgpr_read_b32 v30, a116                               // 0000000079D0: D3D8401E 18000174
	v_accvgpr_read_b32 v31, a117                               // 0000000079D8: D3D8401F 18000175
	v_mul_f32_e32 v30, s47, v30                                // 0000000079E0: 0A3C3C2F
	v_mul_f32_e32 v31, s47, v31                                // 0000000079E4: 0A3E3E2F
	v_cmp_u_f32_e64 s[74:75], v30, v30                         // 0000000079E8: D048004A 00023D1E
	v_bfe_u32 v208, v30, 16, 1                                 // 0000000079F0: D1C800D0 0205211E
	v_add3_u32 v208, v30, v208, v211                           // 0000000079F8: D1FF00D0 074FA11E
	v_cndmask_b32_e64 v28, v208, v210, s[74:75]                // 000000007A00: D100001C 012BA5D0
	v_lshrrev_b32_e32 v28, 16, v28                             // 000000007A08: 20383890
	v_cmp_u_f32_e64 s[74:75], v31, v31                         // 000000007A0C: D048004A 00023F1F
	v_bfe_u32 v208, v31, 16, 1                                 // 000000007A14: D1C800D0 0205211F
	v_add3_u32 v208, v31, v208, v211                           // 000000007A1C: D1FF00D0 074FA11F
	v_cndmask_b32_e64 v29, v208, v210, s[74:75]                // 000000007A24: D100001D 012BA5D0
	v_and_or_b32 v66, v29, v209, v28                           // 000000007A2C: D2010042 0473A31D
	v_accvgpr_read_b32 v30, a118                               // 000000007A34: D3D8401E 18000176
	v_accvgpr_read_b32 v31, a119                               // 000000007A3C: D3D8401F 18000177
	v_mul_f32_e32 v30, s47, v30                                // 000000007A44: 0A3C3C2F
	v_mul_f32_e32 v31, s47, v31                                // 000000007A48: 0A3E3E2F
	v_cmp_u_f32_e64 s[74:75], v30, v30                         // 000000007A4C: D048004A 00023D1E
	v_bfe_u32 v208, v30, 16, 1                                 // 000000007A54: D1C800D0 0205211E
	v_add3_u32 v208, v30, v208, v211                           // 000000007A5C: D1FF00D0 074FA11E
	v_cndmask_b32_e64 v28, v208, v210, s[74:75]                // 000000007A64: D100001C 012BA5D0
	v_lshrrev_b32_e32 v28, 16, v28                             // 000000007A6C: 20383890
	v_cmp_u_f32_e64 s[74:75], v31, v31                         // 000000007A70: D048004A 00023F1F
	v_bfe_u32 v208, v31, 16, 1                                 // 000000007A78: D1C800D0 0205211F
	v_add3_u32 v208, v31, v208, v211                           // 000000007A80: D1FF00D0 074FA11F
	v_cndmask_b32_e64 v29, v208, v210, s[74:75]                // 000000007A88: D100001D 012BA5D0
	v_and_or_b32 v67, v29, v209, v28                           // 000000007A90: D2010043 0473A31D
	v_accvgpr_read_b32 v30, a120                               // 000000007A98: D3D8401E 18000178
	v_accvgpr_read_b32 v31, a121                               // 000000007AA0: D3D8401F 18000179
	v_mul_f32_e32 v30, s47, v30                                // 000000007AA8: 0A3C3C2F
	v_mul_f32_e32 v31, s47, v31                                // 000000007AAC: 0A3E3E2F
	v_cmp_u_f32_e64 s[74:75], v30, v30                         // 000000007AB0: D048004A 00023D1E
	v_bfe_u32 v208, v30, 16, 1                                 // 000000007AB8: D1C800D0 0205211E
	v_add3_u32 v208, v30, v208, v211                           // 000000007AC0: D1FF00D0 074FA11E
	v_cndmask_b32_e64 v28, v208, v210, s[74:75]                // 000000007AC8: D100001C 012BA5D0
	v_lshrrev_b32_e32 v28, 16, v28                             // 000000007AD0: 20383890
	v_cmp_u_f32_e64 s[74:75], v31, v31                         // 000000007AD4: D048004A 00023F1F
	v_bfe_u32 v208, v31, 16, 1                                 // 000000007ADC: D1C800D0 0205211F
	v_add3_u32 v208, v31, v208, v211                           // 000000007AE4: D1FF00D0 074FA11F
	v_cndmask_b32_e64 v29, v208, v210, s[74:75]                // 000000007AEC: D100001D 012BA5D0
	v_and_or_b32 v68, v29, v209, v28                           // 000000007AF4: D2010044 0473A31D
	v_accvgpr_read_b32 v30, a122                               // 000000007AFC: D3D8401E 1800017A
	v_accvgpr_read_b32 v31, a123                               // 000000007B04: D3D8401F 1800017B
	v_mul_f32_e32 v30, s47, v30                                // 000000007B0C: 0A3C3C2F
	v_mul_f32_e32 v31, s47, v31                                // 000000007B10: 0A3E3E2F
	v_cmp_u_f32_e64 s[74:75], v30, v30                         // 000000007B14: D048004A 00023D1E
	v_bfe_u32 v208, v30, 16, 1                                 // 000000007B1C: D1C800D0 0205211E
	v_add3_u32 v208, v30, v208, v211                           // 000000007B24: D1FF00D0 074FA11E
	v_cndmask_b32_e64 v28, v208, v210, s[74:75]                // 000000007B2C: D100001C 012BA5D0
	v_lshrrev_b32_e32 v28, 16, v28                             // 000000007B34: 20383890
	v_cmp_u_f32_e64 s[74:75], v31, v31                         // 000000007B38: D048004A 00023F1F
	v_bfe_u32 v208, v31, 16, 1                                 // 000000007B40: D1C800D0 0205211F
	v_add3_u32 v208, v31, v208, v211                           // 000000007B48: D1FF00D0 074FA11F
	v_cndmask_b32_e64 v29, v208, v210, s[74:75]                // 000000007B50: D100001D 012BA5D0
	v_and_or_b32 v69, v29, v209, v28                           // 000000007B58: D2010045 0473A31D
	v_accvgpr_read_b32 v30, a124                               // 000000007B60: D3D8401E 1800017C
	v_accvgpr_read_b32 v31, a125                               // 000000007B68: D3D8401F 1800017D
	v_mul_f32_e32 v30, s47, v30                                // 000000007B70: 0A3C3C2F
	v_mul_f32_e32 v31, s47, v31                                // 000000007B74: 0A3E3E2F
	v_cmp_u_f32_e64 s[74:75], v30, v30                         // 000000007B78: D048004A 00023D1E
	v_bfe_u32 v208, v30, 16, 1                                 // 000000007B80: D1C800D0 0205211E
	v_add3_u32 v208, v30, v208, v211                           // 000000007B88: D1FF00D0 074FA11E
	v_cndmask_b32_e64 v28, v208, v210, s[74:75]                // 000000007B90: D100001C 012BA5D0
	v_lshrrev_b32_e32 v28, 16, v28                             // 000000007B98: 20383890
	v_cmp_u_f32_e64 s[74:75], v31, v31                         // 000000007B9C: D048004A 00023F1F
	v_bfe_u32 v208, v31, 16, 1                                 // 000000007BA4: D1C800D0 0205211F
	v_add3_u32 v208, v31, v208, v211                           // 000000007BAC: D1FF00D0 074FA11F
	v_cndmask_b32_e64 v29, v208, v210, s[74:75]                // 000000007BB4: D100001D 012BA5D0
	v_and_or_b32 v70, v29, v209, v28                           // 000000007BBC: D2010046 0473A31D
	v_accvgpr_read_b32 v30, a126                               // 000000007BC4: D3D8401E 1800017E
	v_accvgpr_read_b32 v31, a127                               // 000000007BCC: D3D8401F 1800017F
	v_mul_f32_e32 v30, s47, v30                                // 000000007BD4: 0A3C3C2F
	v_mul_f32_e32 v31, s47, v31                                // 000000007BD8: 0A3E3E2F
	v_cmp_u_f32_e64 s[74:75], v30, v30                         // 000000007BDC: D048004A 00023D1E
	v_bfe_u32 v208, v30, 16, 1                                 // 000000007BE4: D1C800D0 0205211E
	v_add3_u32 v208, v30, v208, v211                           // 000000007BEC: D1FF00D0 074FA11E
	v_cndmask_b32_e64 v28, v208, v210, s[74:75]                // 000000007BF4: D100001C 012BA5D0
	v_lshrrev_b32_e32 v28, 16, v28                             // 000000007BFC: 20383890
	v_cmp_u_f32_e64 s[74:75], v31, v31                         // 000000007C00: D048004A 00023F1F
	v_bfe_u32 v208, v31, 16, 1                                 // 000000007C08: D1C800D0 0205211F
	v_add3_u32 v208, v31, v208, v211                           // 000000007C10: D1FF00D0 074FA11F
	v_cndmask_b32_e64 v29, v208, v210, s[74:75]                // 000000007C18: D100001D 012BA5D0
	v_and_or_b32 v71, v29, v209, v28                           // 000000007C20: D2010047 0473A31D
	v_accvgpr_read_b32 v30, a128                               // 000000007C28: D3D8401E 18000180
	v_accvgpr_read_b32 v31, a129                               // 000000007C30: D3D8401F 18000181
	v_mul_f32_e32 v30, s47, v30                                // 000000007C38: 0A3C3C2F
	v_mul_f32_e32 v31, s47, v31                                // 000000007C3C: 0A3E3E2F
	v_cmp_u_f32_e64 s[74:75], v30, v30                         // 000000007C40: D048004A 00023D1E
	v_bfe_u32 v208, v30, 16, 1                                 // 000000007C48: D1C800D0 0205211E
	v_add3_u32 v208, v30, v208, v211                           // 000000007C50: D1FF00D0 074FA11E
	v_cndmask_b32_e64 v28, v208, v210, s[74:75]                // 000000007C58: D100001C 012BA5D0
	v_lshrrev_b32_e32 v28, 16, v28                             // 000000007C60: 20383890
	v_cmp_u_f32_e64 s[74:75], v31, v31                         // 000000007C64: D048004A 00023F1F
	v_bfe_u32 v208, v31, 16, 1                                 // 000000007C6C: D1C800D0 0205211F
	v_add3_u32 v208, v31, v208, v211                           // 000000007C74: D1FF00D0 074FA11F
	v_cndmask_b32_e64 v29, v208, v210, s[74:75]                // 000000007C7C: D100001D 012BA5D0
	v_and_or_b32 v72, v29, v209, v28                           // 000000007C84: D2010048 0473A31D
	v_accvgpr_read_b32 v30, a130                               // 000000007C8C: D3D8401E 18000182
	v_accvgpr_read_b32 v31, a131                               // 000000007C94: D3D8401F 18000183
	v_mul_f32_e32 v30, s47, v30                                // 000000007C9C: 0A3C3C2F
	v_mul_f32_e32 v31, s47, v31                                // 000000007CA0: 0A3E3E2F
	v_cmp_u_f32_e64 s[74:75], v30, v30                         // 000000007CA4: D048004A 00023D1E
	v_bfe_u32 v208, v30, 16, 1                                 // 000000007CAC: D1C800D0 0205211E
	v_add3_u32 v208, v30, v208, v211                           // 000000007CB4: D1FF00D0 074FA11E
	v_cndmask_b32_e64 v28, v208, v210, s[74:75]                // 000000007CBC: D100001C 012BA5D0
	v_lshrrev_b32_e32 v28, 16, v28                             // 000000007CC4: 20383890
	v_cmp_u_f32_e64 s[74:75], v31, v31                         // 000000007CC8: D048004A 00023F1F
	v_bfe_u32 v208, v31, 16, 1                                 // 000000007CD0: D1C800D0 0205211F
	v_add3_u32 v208, v31, v208, v211                           // 000000007CD8: D1FF00D0 074FA11F
	v_cndmask_b32_e64 v29, v208, v210, s[74:75]                // 000000007CE0: D100001D 012BA5D0
	v_and_or_b32 v73, v29, v209, v28                           // 000000007CE8: D2010049 0473A31D
	v_accvgpr_read_b32 v30, a132                               // 000000007CF0: D3D8401E 18000184
	v_accvgpr_read_b32 v31, a133                               // 000000007CF8: D3D8401F 18000185
	v_mul_f32_e32 v30, s47, v30                                // 000000007D00: 0A3C3C2F
	v_mul_f32_e32 v31, s47, v31                                // 000000007D04: 0A3E3E2F
	v_cmp_u_f32_e64 s[74:75], v30, v30                         // 000000007D08: D048004A 00023D1E
	v_bfe_u32 v208, v30, 16, 1                                 // 000000007D10: D1C800D0 0205211E
	v_add3_u32 v208, v30, v208, v211                           // 000000007D18: D1FF00D0 074FA11E
	v_cndmask_b32_e64 v28, v208, v210, s[74:75]                // 000000007D20: D100001C 012BA5D0
	v_lshrrev_b32_e32 v28, 16, v28                             // 000000007D28: 20383890
	v_cmp_u_f32_e64 s[74:75], v31, v31                         // 000000007D2C: D048004A 00023F1F
	v_bfe_u32 v208, v31, 16, 1                                 // 000000007D34: D1C800D0 0205211F
	v_add3_u32 v208, v31, v208, v211                           // 000000007D3C: D1FF00D0 074FA11F
	v_cndmask_b32_e64 v29, v208, v210, s[74:75]                // 000000007D44: D100001D 012BA5D0
	v_and_or_b32 v74, v29, v209, v28                           // 000000007D4C: D201004A 0473A31D
	v_accvgpr_read_b32 v30, a134                               // 000000007D54: D3D8401E 18000186
	v_accvgpr_read_b32 v31, a135                               // 000000007D5C: D3D8401F 18000187
	v_mul_f32_e32 v30, s47, v30                                // 000000007D64: 0A3C3C2F
	v_mul_f32_e32 v31, s47, v31                                // 000000007D68: 0A3E3E2F
	v_cmp_u_f32_e64 s[74:75], v30, v30                         // 000000007D6C: D048004A 00023D1E
	v_bfe_u32 v208, v30, 16, 1                                 // 000000007D74: D1C800D0 0205211E
	v_add3_u32 v208, v30, v208, v211                           // 000000007D7C: D1FF00D0 074FA11E
	v_cndmask_b32_e64 v28, v208, v210, s[74:75]                // 000000007D84: D100001C 012BA5D0
	v_lshrrev_b32_e32 v28, 16, v28                             // 000000007D8C: 20383890
	v_cmp_u_f32_e64 s[74:75], v31, v31                         // 000000007D90: D048004A 00023F1F
	v_bfe_u32 v208, v31, 16, 1                                 // 000000007D98: D1C800D0 0205211F
	v_add3_u32 v208, v31, v208, v211                           // 000000007DA0: D1FF00D0 074FA11F
	v_cndmask_b32_e64 v29, v208, v210, s[74:75]                // 000000007DA8: D100001D 012BA5D0
	v_and_or_b32 v75, v29, v209, v28                           // 000000007DB0: D201004B 0473A31D
	v_accvgpr_read_b32 v30, a136                               // 000000007DB8: D3D8401E 18000188
	v_accvgpr_read_b32 v31, a137                               // 000000007DC0: D3D8401F 18000189
	v_mul_f32_e32 v30, s47, v30                                // 000000007DC8: 0A3C3C2F
	v_mul_f32_e32 v31, s47, v31                                // 000000007DCC: 0A3E3E2F
	v_cmp_u_f32_e64 s[74:75], v30, v30                         // 000000007DD0: D048004A 00023D1E
	v_bfe_u32 v208, v30, 16, 1                                 // 000000007DD8: D1C800D0 0205211E
	v_add3_u32 v208, v30, v208, v211                           // 000000007DE0: D1FF00D0 074FA11E
	v_cndmask_b32_e64 v28, v208, v210, s[74:75]                // 000000007DE8: D100001C 012BA5D0
	v_lshrrev_b32_e32 v28, 16, v28                             // 000000007DF0: 20383890
	v_cmp_u_f32_e64 s[74:75], v31, v31                         // 000000007DF4: D048004A 00023F1F
	v_bfe_u32 v208, v31, 16, 1                                 // 000000007DFC: D1C800D0 0205211F
	v_add3_u32 v208, v31, v208, v211                           // 000000007E04: D1FF00D0 074FA11F
	v_cndmask_b32_e64 v29, v208, v210, s[74:75]                // 000000007E0C: D100001D 012BA5D0
	v_and_or_b32 v76, v29, v209, v28                           // 000000007E14: D201004C 0473A31D
	v_accvgpr_read_b32 v30, a138                               // 000000007E1C: D3D8401E 1800018A
	v_accvgpr_read_b32 v31, a139                               // 000000007E24: D3D8401F 1800018B
	v_mul_f32_e32 v30, s47, v30                                // 000000007E2C: 0A3C3C2F
	v_mul_f32_e32 v31, s47, v31                                // 000000007E30: 0A3E3E2F
	v_cmp_u_f32_e64 s[74:75], v30, v30                         // 000000007E34: D048004A 00023D1E
	v_bfe_u32 v208, v30, 16, 1                                 // 000000007E3C: D1C800D0 0205211E
	v_add3_u32 v208, v30, v208, v211                           // 000000007E44: D1FF00D0 074FA11E
	v_cndmask_b32_e64 v28, v208, v210, s[74:75]                // 000000007E4C: D100001C 012BA5D0
	v_lshrrev_b32_e32 v28, 16, v28                             // 000000007E54: 20383890
	v_cmp_u_f32_e64 s[74:75], v31, v31                         // 000000007E58: D048004A 00023F1F
	v_bfe_u32 v208, v31, 16, 1                                 // 000000007E60: D1C800D0 0205211F
	v_add3_u32 v208, v31, v208, v211                           // 000000007E68: D1FF00D0 074FA11F
	v_cndmask_b32_e64 v29, v208, v210, s[74:75]                // 000000007E70: D100001D 012BA5D0
	v_and_or_b32 v77, v29, v209, v28                           // 000000007E78: D201004D 0473A31D
	v_accvgpr_read_b32 v30, a140                               // 000000007E80: D3D8401E 1800018C
	v_accvgpr_read_b32 v31, a141                               // 000000007E88: D3D8401F 1800018D
	v_mul_f32_e32 v30, s47, v30                                // 000000007E90: 0A3C3C2F
	v_mul_f32_e32 v31, s47, v31                                // 000000007E94: 0A3E3E2F
	v_cmp_u_f32_e64 s[74:75], v30, v30                         // 000000007E98: D048004A 00023D1E
	v_bfe_u32 v208, v30, 16, 1                                 // 000000007EA0: D1C800D0 0205211E
	v_add3_u32 v208, v30, v208, v211                           // 000000007EA8: D1FF00D0 074FA11E
	v_cndmask_b32_e64 v28, v208, v210, s[74:75]                // 000000007EB0: D100001C 012BA5D0
	v_lshrrev_b32_e32 v28, 16, v28                             // 000000007EB8: 20383890
	v_cmp_u_f32_e64 s[74:75], v31, v31                         // 000000007EBC: D048004A 00023F1F
	v_bfe_u32 v208, v31, 16, 1                                 // 000000007EC4: D1C800D0 0205211F
	v_add3_u32 v208, v31, v208, v211                           // 000000007ECC: D1FF00D0 074FA11F
	v_cndmask_b32_e64 v29, v208, v210, s[74:75]                // 000000007ED4: D100001D 012BA5D0
	v_and_or_b32 v78, v29, v209, v28                           // 000000007EDC: D201004E 0473A31D
	v_accvgpr_read_b32 v30, a142                               // 000000007EE4: D3D8401E 1800018E
	v_accvgpr_read_b32 v31, a143                               // 000000007EEC: D3D8401F 1800018F
	v_mul_f32_e32 v30, s47, v30                                // 000000007EF4: 0A3C3C2F
	v_mul_f32_e32 v31, s47, v31                                // 000000007EF8: 0A3E3E2F
	v_cmp_u_f32_e64 s[74:75], v30, v30                         // 000000007EFC: D048004A 00023D1E
	v_bfe_u32 v208, v30, 16, 1                                 // 000000007F04: D1C800D0 0205211E
	v_add3_u32 v208, v30, v208, v211                           // 000000007F0C: D1FF00D0 074FA11E
	v_cndmask_b32_e64 v28, v208, v210, s[74:75]                // 000000007F14: D100001C 012BA5D0
	v_lshrrev_b32_e32 v28, 16, v28                             // 000000007F1C: 20383890
	v_cmp_u_f32_e64 s[74:75], v31, v31                         // 000000007F20: D048004A 00023F1F
	v_bfe_u32 v208, v31, 16, 1                                 // 000000007F28: D1C800D0 0205211F
	v_add3_u32 v208, v31, v208, v211                           // 000000007F30: D1FF00D0 074FA11F
	v_cndmask_b32_e64 v29, v208, v210, s[74:75]                // 000000007F38: D100001D 012BA5D0
	v_and_or_b32 v79, v29, v209, v28                           // 000000007F40: D201004F 0473A31D
	ds_write_b64 v25, v[56:57]                                 // 000000007F48: D89A0000 00003819
	ds_write_b64 v25, v[58:59] offset:544                      // 000000007F50: D89A0220 00003A19
	ds_write_b64 v25, v[60:61] offset:1088                     // 000000007F58: D89A0440 00003C19
	ds_write_b64 v25, v[62:63] offset:1632                     // 000000007F60: D89A0660 00003E19
	ds_write_b64 v25, v[64:65] offset:2176                     // 000000007F68: D89A0880 00004019
	ds_write_b64 v25, v[66:67] offset:2720                     // 000000007F70: D89A0AA0 00004219
	ds_write_b64 v25, v[68:69] offset:3264                     // 000000007F78: D89A0CC0 00004419
	ds_write_b64 v25, v[70:71] offset:3808                     // 000000007F80: D89A0EE0 00004619
	ds_write_b64 v25, v[72:73] offset:4352                     // 000000007F88: D89A1100 00004819
	ds_write_b64 v25, v[74:75] offset:4896                     // 000000007F90: D89A1320 00004A19
	ds_write_b64 v25, v[76:77] offset:5440                     // 000000007F98: D89A1540 00004C19
	ds_write_b64 v25, v[78:79] offset:5984                     // 000000007FA0: D89A1760 00004E19
	s_waitcnt lgkmcnt(0)                                       // 000000007FA8: BF8CC07F
	s_barrier                                                  // 000000007FAC: BF8A0000
	ds_read_b64 v[56:57], v24                                  // 000000007FB0: D8EC0000 38000018
	ds_read_b64 v[58:59], v24 offset:128                       // 000000007FB8: D8EC0080 3A000018
	ds_read_b64 v[60:61], v24 offset:64                        // 000000007FC0: D8EC0040 3C000018
	ds_read_b64 v[62:63], v24 offset:192                       // 000000007FC8: D8EC00C0 3E000018
	ds_read_b64 v[64:65], v24 offset:2176                      // 000000007FD0: D8EC0880 40000018
	ds_read_b64 v[66:67], v24 offset:2304                      // 000000007FD8: D8EC0900 42000018
	ds_read_b64 v[68:69], v24 offset:2240                      // 000000007FE0: D8EC08C0 44000018
	ds_read_b64 v[70:71], v24 offset:2368                      // 000000007FE8: D8EC0940 46000018
	ds_read_b64 v[72:73], v24 offset:4352                      // 000000007FF0: D8EC1100 48000018
	ds_read_b64 v[74:75], v24 offset:4480                      // 000000007FF8: D8EC1180 4A000018
	ds_read_b64 v[76:77], v24 offset:4416                      // 000000008000: D8EC1140 4C000018
	ds_read_b64 v[78:79], v24 offset:4544                      // 000000008008: D8EC11C0 4E000018
	s_waitcnt lgkmcnt(0)                                       // 000000008010: BF8CC07F
	buffer_store_dwordx4 v[56:59], v3, s[36:39], 0 idxen       // 000000008014: E07C2000 80093803
	v_add_u32_e32 v3, 32, v3                                   // 00000000801C: 680606A0
	buffer_store_dwordx4 v[60:63], v4, s[36:39], 0 idxen       // 000000008020: E07C2000 80093C04
	v_add_u32_e32 v4, 32, v4                                   // 000000008028: 680808A0
	buffer_store_dwordx4 v[64:67], v3, s[36:39], 0 idxen       // 00000000802C: E07C2000 80094003
	v_add_u32_e32 v3, 32, v3                                   // 000000008034: 680606A0
	buffer_store_dwordx4 v[68:71], v4, s[36:39], 0 idxen       // 000000008038: E07C2000 80094404
	v_add_u32_e32 v4, 32, v4                                   // 000000008040: 680808A0
	s_mov_b64 exec, s[90:91]                                   // 000000008044: BEFE015A
	buffer_store_dwordx4 v[72:75], v3, s[36:39], 0 idxen       // 000000008048: E07C2000 80094803
	s_mov_b64 exec, s[86:87]                                   // 000000008050: BEFE0156
	v_add_u32_e32 v3, 32, v3                                   // 000000008054: 680606A0
	s_mov_b64 exec, s[90:91]                                   // 000000008058: BEFE015A
	buffer_store_dwordx4 v[76:79], v4, s[36:39], 0 idxen       // 00000000805C: E07C2000 80094C04
	s_mov_b64 exec, s[86:87]                                   // 000000008064: BEFE0156
	v_add_u32_e32 v4, 32, v4                                   // 000000008068: 680808A0
	s_barrier                                                  // 00000000806C: BF8A0000
	v_mov_b32_e32 v30, v160                                    // 000000008070: 7E3C03A0
	v_mov_b32_e32 v31, v161                                    // 000000008074: 7E3E03A1
	v_cmp_u_f32_e64 s[74:75], v30, v30                         // 000000008078: D048004A 00023D1E
	v_bfe_u32 v208, v30, 16, 1                                 // 000000008080: D1C800D0 0205211E
	v_add3_u32 v208, v30, v208, v211                           // 000000008088: D1FF00D0 074FA11E
	v_cndmask_b32_e64 v28, v208, v210, s[74:75]                // 000000008090: D100001C 012BA5D0
	v_lshrrev_b32_e32 v28, 16, v28                             // 000000008098: 20383890
	v_cmp_u_f32_e64 s[74:75], v31, v31                         // 00000000809C: D048004A 00023F1F
	v_bfe_u32 v208, v31, 16, 1                                 // 0000000080A4: D1C800D0 0205211F
	v_add3_u32 v208, v31, v208, v211                           // 0000000080AC: D1FF00D0 074FA11F
	v_cndmask_b32_e64 v29, v208, v210, s[74:75]                // 0000000080B4: D100001D 012BA5D0
	v_and_or_b32 v160, v29, v209, v28                          // 0000000080BC: D20100A0 0473A31D
	v_mov_b32_e32 v30, v162                                    // 0000000080C4: 7E3C03A2
	v_mov_b32_e32 v31, v163                                    // 0000000080C8: 7E3E03A3
	v_cmp_u_f32_e64 s[74:75], v30, v30                         // 0000000080CC: D048004A 00023D1E
	v_bfe_u32 v208, v30, 16, 1                                 // 0000000080D4: D1C800D0 0205211E
	v_add3_u32 v208, v30, v208, v211                           // 0000000080DC: D1FF00D0 074FA11E
	v_cndmask_b32_e64 v28, v208, v210, s[74:75]                // 0000000080E4: D100001C 012BA5D0
	v_lshrrev_b32_e32 v28, 16, v28                             // 0000000080EC: 20383890
	v_cmp_u_f32_e64 s[74:75], v31, v31                         // 0000000080F0: D048004A 00023F1F
	v_bfe_u32 v208, v31, 16, 1                                 // 0000000080F8: D1C800D0 0205211F
	v_add3_u32 v208, v31, v208, v211                           // 000000008100: D1FF00D0 074FA11F
	v_cndmask_b32_e64 v29, v208, v210, s[74:75]                // 000000008108: D100001D 012BA5D0
	v_and_or_b32 v161, v29, v209, v28                          // 000000008110: D20100A1 0473A31D
	v_mov_b32_e32 v30, v164                                    // 000000008118: 7E3C03A4
	v_mov_b32_e32 v31, v165                                    // 00000000811C: 7E3E03A5
	v_cmp_u_f32_e64 s[74:75], v30, v30                         // 000000008120: D048004A 00023D1E
	v_bfe_u32 v208, v30, 16, 1                                 // 000000008128: D1C800D0 0205211E
	v_add3_u32 v208, v30, v208, v211                           // 000000008130: D1FF00D0 074FA11E
	v_cndmask_b32_e64 v28, v208, v210, s[74:75]                // 000000008138: D100001C 012BA5D0
	v_lshrrev_b32_e32 v28, 16, v28                             // 000000008140: 20383890
	v_cmp_u_f32_e64 s[74:75], v31, v31                         // 000000008144: D048004A 00023F1F
	v_bfe_u32 v208, v31, 16, 1                                 // 00000000814C: D1C800D0 0205211F
	v_add3_u32 v208, v31, v208, v211                           // 000000008154: D1FF00D0 074FA11F
	v_cndmask_b32_e64 v29, v208, v210, s[74:75]                // 00000000815C: D100001D 012BA5D0
	v_and_or_b32 v162, v29, v209, v28                          // 000000008164: D20100A2 0473A31D
	v_mov_b32_e32 v30, v166                                    // 00000000816C: 7E3C03A6
	v_mov_b32_e32 v31, v167                                    // 000000008170: 7E3E03A7
	v_cmp_u_f32_e64 s[74:75], v30, v30                         // 000000008174: D048004A 00023D1E
	v_bfe_u32 v208, v30, 16, 1                                 // 00000000817C: D1C800D0 0205211E
	v_add3_u32 v208, v30, v208, v211                           // 000000008184: D1FF00D0 074FA11E
	v_cndmask_b32_e64 v28, v208, v210, s[74:75]                // 00000000818C: D100001C 012BA5D0
	v_lshrrev_b32_e32 v28, 16, v28                             // 000000008194: 20383890
	v_cmp_u_f32_e64 s[74:75], v31, v31                         // 000000008198: D048004A 00023F1F
	v_bfe_u32 v208, v31, 16, 1                                 // 0000000081A0: D1C800D0 0205211F
	v_add3_u32 v208, v31, v208, v211                           // 0000000081A8: D1FF00D0 074FA11F
	v_cndmask_b32_e64 v29, v208, v210, s[74:75]                // 0000000081B0: D100001D 012BA5D0
	v_and_or_b32 v163, v29, v209, v28                          // 0000000081B8: D20100A3 0473A31D
	v_mov_b32_e32 v30, v168                                    // 0000000081C0: 7E3C03A8
	v_mov_b32_e32 v31, v169                                    // 0000000081C4: 7E3E03A9
	v_cmp_u_f32_e64 s[74:75], v30, v30                         // 0000000081C8: D048004A 00023D1E
	v_bfe_u32 v208, v30, 16, 1                                 // 0000000081D0: D1C800D0 0205211E
	v_add3_u32 v208, v30, v208, v211                           // 0000000081D8: D1FF00D0 074FA11E
	v_cndmask_b32_e64 v28, v208, v210, s[74:75]                // 0000000081E0: D100001C 012BA5D0
	v_lshrrev_b32_e32 v28, 16, v28                             // 0000000081E8: 20383890
	v_cmp_u_f32_e64 s[74:75], v31, v31                         // 0000000081EC: D048004A 00023F1F
	v_bfe_u32 v208, v31, 16, 1                                 // 0000000081F4: D1C800D0 0205211F
	v_add3_u32 v208, v31, v208, v211                           // 0000000081FC: D1FF00D0 074FA11F
	v_cndmask_b32_e64 v29, v208, v210, s[74:75]                // 000000008204: D100001D 012BA5D0
	v_and_or_b32 v164, v29, v209, v28                          // 00000000820C: D20100A4 0473A31D
	v_mov_b32_e32 v30, v170                                    // 000000008214: 7E3C03AA
	v_mov_b32_e32 v31, v171                                    // 000000008218: 7E3E03AB
	v_cmp_u_f32_e64 s[74:75], v30, v30                         // 00000000821C: D048004A 00023D1E
	v_bfe_u32 v208, v30, 16, 1                                 // 000000008224: D1C800D0 0205211E
	v_add3_u32 v208, v30, v208, v211                           // 00000000822C: D1FF00D0 074FA11E
	v_cndmask_b32_e64 v28, v208, v210, s[74:75]                // 000000008234: D100001C 012BA5D0
	v_lshrrev_b32_e32 v28, 16, v28                             // 00000000823C: 20383890
	v_cmp_u_f32_e64 s[74:75], v31, v31                         // 000000008240: D048004A 00023F1F
	v_bfe_u32 v208, v31, 16, 1                                 // 000000008248: D1C800D0 0205211F
	v_add3_u32 v208, v31, v208, v211                           // 000000008250: D1FF00D0 074FA11F
	v_cndmask_b32_e64 v29, v208, v210, s[74:75]                // 000000008258: D100001D 012BA5D0
	v_and_or_b32 v165, v29, v209, v28                          // 000000008260: D20100A5 0473A31D
	v_mov_b32_e32 v30, v172                                    // 000000008268: 7E3C03AC
	v_mov_b32_e32 v31, v173                                    // 00000000826C: 7E3E03AD
	v_cmp_u_f32_e64 s[74:75], v30, v30                         // 000000008270: D048004A 00023D1E
	v_bfe_u32 v208, v30, 16, 1                                 // 000000008278: D1C800D0 0205211E
	v_add3_u32 v208, v30, v208, v211                           // 000000008280: D1FF00D0 074FA11E
	v_cndmask_b32_e64 v28, v208, v210, s[74:75]                // 000000008288: D100001C 012BA5D0
	v_lshrrev_b32_e32 v28, 16, v28                             // 000000008290: 20383890
	v_cmp_u_f32_e64 s[74:75], v31, v31                         // 000000008294: D048004A 00023F1F
	v_bfe_u32 v208, v31, 16, 1                                 // 00000000829C: D1C800D0 0205211F
	v_add3_u32 v208, v31, v208, v211                           // 0000000082A4: D1FF00D0 074FA11F
	v_cndmask_b32_e64 v29, v208, v210, s[74:75]                // 0000000082AC: D100001D 012BA5D0
	v_and_or_b32 v166, v29, v209, v28                          // 0000000082B4: D20100A6 0473A31D
	v_mov_b32_e32 v30, v174                                    // 0000000082BC: 7E3C03AE
	v_mov_b32_e32 v31, v175                                    // 0000000082C0: 7E3E03AF
	v_cmp_u_f32_e64 s[74:75], v30, v30                         // 0000000082C4: D048004A 00023D1E
	v_bfe_u32 v208, v30, 16, 1                                 // 0000000082CC: D1C800D0 0205211E
	v_add3_u32 v208, v30, v208, v211                           // 0000000082D4: D1FF00D0 074FA11E
	v_cndmask_b32_e64 v28, v208, v210, s[74:75]                // 0000000082DC: D100001C 012BA5D0
	v_lshrrev_b32_e32 v28, 16, v28                             // 0000000082E4: 20383890
	v_cmp_u_f32_e64 s[74:75], v31, v31                         // 0000000082E8: D048004A 00023F1F
	v_bfe_u32 v208, v31, 16, 1                                 // 0000000082F0: D1C800D0 0205211F
	v_add3_u32 v208, v31, v208, v211                           // 0000000082F8: D1FF00D0 074FA11F
	v_cndmask_b32_e64 v29, v208, v210, s[74:75]                // 000000008300: D100001D 012BA5D0
	v_and_or_b32 v167, v29, v209, v28                          // 000000008308: D20100A7 0473A31D
	v_mov_b32_e32 v30, v176                                    // 000000008310: 7E3C03B0
	v_mov_b32_e32 v31, v177                                    // 000000008314: 7E3E03B1
	v_cmp_u_f32_e64 s[74:75], v30, v30                         // 000000008318: D048004A 00023D1E
	v_bfe_u32 v208, v30, 16, 1                                 // 000000008320: D1C800D0 0205211E
	v_add3_u32 v208, v30, v208, v211                           // 000000008328: D1FF00D0 074FA11E
	v_cndmask_b32_e64 v28, v208, v210, s[74:75]                // 000000008330: D100001C 012BA5D0
	v_lshrrev_b32_e32 v28, 16, v28                             // 000000008338: 20383890
	v_cmp_u_f32_e64 s[74:75], v31, v31                         // 00000000833C: D048004A 00023F1F
	v_bfe_u32 v208, v31, 16, 1                                 // 000000008344: D1C800D0 0205211F
	v_add3_u32 v208, v31, v208, v211                           // 00000000834C: D1FF00D0 074FA11F
	v_cndmask_b32_e64 v29, v208, v210, s[74:75]                // 000000008354: D100001D 012BA5D0
	v_and_or_b32 v168, v29, v209, v28                          // 00000000835C: D20100A8 0473A31D
	v_mov_b32_e32 v30, v178                                    // 000000008364: 7E3C03B2
	v_mov_b32_e32 v31, v179                                    // 000000008368: 7E3E03B3
	v_cmp_u_f32_e64 s[74:75], v30, v30                         // 00000000836C: D048004A 00023D1E
	v_bfe_u32 v208, v30, 16, 1                                 // 000000008374: D1C800D0 0205211E
	v_add3_u32 v208, v30, v208, v211                           // 00000000837C: D1FF00D0 074FA11E
	v_cndmask_b32_e64 v28, v208, v210, s[74:75]                // 000000008384: D100001C 012BA5D0
	v_lshrrev_b32_e32 v28, 16, v28                             // 00000000838C: 20383890
	v_cmp_u_f32_e64 s[74:75], v31, v31                         // 000000008390: D048004A 00023F1F
	v_bfe_u32 v208, v31, 16, 1                                 // 000000008398: D1C800D0 0205211F
	v_add3_u32 v208, v31, v208, v211                           // 0000000083A0: D1FF00D0 074FA11F
	v_cndmask_b32_e64 v29, v208, v210, s[74:75]                // 0000000083A8: D100001D 012BA5D0
	v_and_or_b32 v169, v29, v209, v28                          // 0000000083B0: D20100A9 0473A31D
	v_mov_b32_e32 v30, v180                                    // 0000000083B8: 7E3C03B4
	v_mov_b32_e32 v31, v181                                    // 0000000083BC: 7E3E03B5
	v_cmp_u_f32_e64 s[74:75], v30, v30                         // 0000000083C0: D048004A 00023D1E
	v_bfe_u32 v208, v30, 16, 1                                 // 0000000083C8: D1C800D0 0205211E
	v_add3_u32 v208, v30, v208, v211                           // 0000000083D0: D1FF00D0 074FA11E
	v_cndmask_b32_e64 v28, v208, v210, s[74:75]                // 0000000083D8: D100001C 012BA5D0
	v_lshrrev_b32_e32 v28, 16, v28                             // 0000000083E0: 20383890
	v_cmp_u_f32_e64 s[74:75], v31, v31                         // 0000000083E4: D048004A 00023F1F
	v_bfe_u32 v208, v31, 16, 1                                 // 0000000083EC: D1C800D0 0205211F
	v_add3_u32 v208, v31, v208, v211                           // 0000000083F4: D1FF00D0 074FA11F
	v_cndmask_b32_e64 v29, v208, v210, s[74:75]                // 0000000083FC: D100001D 012BA5D0
	v_and_or_b32 v170, v29, v209, v28                          // 000000008404: D20100AA 0473A31D
	v_mov_b32_e32 v30, v182                                    // 00000000840C: 7E3C03B6
	v_mov_b32_e32 v31, v183                                    // 000000008410: 7E3E03B7
	v_cmp_u_f32_e64 s[74:75], v30, v30                         // 000000008414: D048004A 00023D1E
	v_bfe_u32 v208, v30, 16, 1                                 // 00000000841C: D1C800D0 0205211E
	v_add3_u32 v208, v30, v208, v211                           // 000000008424: D1FF00D0 074FA11E
	v_cndmask_b32_e64 v28, v208, v210, s[74:75]                // 00000000842C: D100001C 012BA5D0
	v_lshrrev_b32_e32 v28, 16, v28                             // 000000008434: 20383890
	v_cmp_u_f32_e64 s[74:75], v31, v31                         // 000000008438: D048004A 00023F1F
	v_bfe_u32 v208, v31, 16, 1                                 // 000000008440: D1C800D0 0205211F
	v_add3_u32 v208, v31, v208, v211                           // 000000008448: D1FF00D0 074FA11F
	v_cndmask_b32_e64 v29, v208, v210, s[74:75]                // 000000008450: D100001D 012BA5D0
	v_and_or_b32 v171, v29, v209, v28                          // 000000008458: D20100AB 0473A31D
	v_mov_b32_e32 v30, v184                                    // 000000008460: 7E3C03B8
	v_mov_b32_e32 v31, v185                                    // 000000008464: 7E3E03B9
	v_cmp_u_f32_e64 s[74:75], v30, v30                         // 000000008468: D048004A 00023D1E
	v_bfe_u32 v208, v30, 16, 1                                 // 000000008470: D1C800D0 0205211E
	v_add3_u32 v208, v30, v208, v211                           // 000000008478: D1FF00D0 074FA11E
	v_cndmask_b32_e64 v28, v208, v210, s[74:75]                // 000000008480: D100001C 012BA5D0
	v_lshrrev_b32_e32 v28, 16, v28                             // 000000008488: 20383890
	v_cmp_u_f32_e64 s[74:75], v31, v31                         // 00000000848C: D048004A 00023F1F
	v_bfe_u32 v208, v31, 16, 1                                 // 000000008494: D1C800D0 0205211F
	v_add3_u32 v208, v31, v208, v211                           // 00000000849C: D1FF00D0 074FA11F
	v_cndmask_b32_e64 v29, v208, v210, s[74:75]                // 0000000084A4: D100001D 012BA5D0
	v_and_or_b32 v172, v29, v209, v28                          // 0000000084AC: D20100AC 0473A31D
	v_mov_b32_e32 v30, v186                                    // 0000000084B4: 7E3C03BA
	v_mov_b32_e32 v31, v187                                    // 0000000084B8: 7E3E03BB
	v_cmp_u_f32_e64 s[74:75], v30, v30                         // 0000000084BC: D048004A 00023D1E
	v_bfe_u32 v208, v30, 16, 1                                 // 0000000084C4: D1C800D0 0205211E
	v_add3_u32 v208, v30, v208, v211                           // 0000000084CC: D1FF00D0 074FA11E
	v_cndmask_b32_e64 v28, v208, v210, s[74:75]                // 0000000084D4: D100001C 012BA5D0
	v_lshrrev_b32_e32 v28, 16, v28                             // 0000000084DC: 20383890
	v_cmp_u_f32_e64 s[74:75], v31, v31                         // 0000000084E0: D048004A 00023F1F
	v_bfe_u32 v208, v31, 16, 1                                 // 0000000084E8: D1C800D0 0205211F
	v_add3_u32 v208, v31, v208, v211                           // 0000000084F0: D1FF00D0 074FA11F
	v_cndmask_b32_e64 v29, v208, v210, s[74:75]                // 0000000084F8: D100001D 012BA5D0
	v_and_or_b32 v173, v29, v209, v28                          // 000000008500: D20100AD 0473A31D
	v_mov_b32_e32 v30, v188                                    // 000000008508: 7E3C03BC
	v_mov_b32_e32 v31, v189                                    // 00000000850C: 7E3E03BD
	v_cmp_u_f32_e64 s[74:75], v30, v30                         // 000000008510: D048004A 00023D1E
	v_bfe_u32 v208, v30, 16, 1                                 // 000000008518: D1C800D0 0205211E
	v_add3_u32 v208, v30, v208, v211                           // 000000008520: D1FF00D0 074FA11E
	v_cndmask_b32_e64 v28, v208, v210, s[74:75]                // 000000008528: D100001C 012BA5D0
	v_lshrrev_b32_e32 v28, 16, v28                             // 000000008530: 20383890
	v_cmp_u_f32_e64 s[74:75], v31, v31                         // 000000008534: D048004A 00023F1F
	v_bfe_u32 v208, v31, 16, 1                                 // 00000000853C: D1C800D0 0205211F
	v_add3_u32 v208, v31, v208, v211                           // 000000008544: D1FF00D0 074FA11F
	v_cndmask_b32_e64 v29, v208, v210, s[74:75]                // 00000000854C: D100001D 012BA5D0
	v_and_or_b32 v174, v29, v209, v28                          // 000000008554: D20100AE 0473A31D
	v_mov_b32_e32 v30, v190                                    // 00000000855C: 7E3C03BE
	v_mov_b32_e32 v31, v191                                    // 000000008560: 7E3E03BF
	v_cmp_u_f32_e64 s[74:75], v30, v30                         // 000000008564: D048004A 00023D1E
	v_bfe_u32 v208, v30, 16, 1                                 // 00000000856C: D1C800D0 0205211E
	v_add3_u32 v208, v30, v208, v211                           // 000000008574: D1FF00D0 074FA11E
	v_cndmask_b32_e64 v28, v208, v210, s[74:75]                // 00000000857C: D100001C 012BA5D0
	v_lshrrev_b32_e32 v28, 16, v28                             // 000000008584: 20383890
	v_cmp_u_f32_e64 s[74:75], v31, v31                         // 000000008588: D048004A 00023F1F
	v_bfe_u32 v208, v31, 16, 1                                 // 000000008590: D1C800D0 0205211F
	v_add3_u32 v208, v31, v208, v211                           // 000000008598: D1FF00D0 074FA11F
	v_cndmask_b32_e64 v29, v208, v210, s[74:75]                // 0000000085A0: D100001D 012BA5D0
	v_and_or_b32 v175, v29, v209, v28                          // 0000000085A8: D20100AF 0473A31D
	v_mov_b32_e32 v30, v192                                    // 0000000085B0: 7E3C03C0
	v_mov_b32_e32 v31, v193                                    // 0000000085B4: 7E3E03C1
	v_cmp_u_f32_e64 s[74:75], v30, v30                         // 0000000085B8: D048004A 00023D1E
	v_bfe_u32 v208, v30, 16, 1                                 // 0000000085C0: D1C800D0 0205211E
	v_add3_u32 v208, v30, v208, v211                           // 0000000085C8: D1FF00D0 074FA11E
	v_cndmask_b32_e64 v28, v208, v210, s[74:75]                // 0000000085D0: D100001C 012BA5D0
	v_lshrrev_b32_e32 v28, 16, v28                             // 0000000085D8: 20383890
	v_cmp_u_f32_e64 s[74:75], v31, v31                         // 0000000085DC: D048004A 00023F1F
	v_bfe_u32 v208, v31, 16, 1                                 // 0000000085E4: D1C800D0 0205211F
	v_add3_u32 v208, v31, v208, v211                           // 0000000085EC: D1FF00D0 074FA11F
	v_cndmask_b32_e64 v29, v208, v210, s[74:75]                // 0000000085F4: D100001D 012BA5D0
	v_and_or_b32 v176, v29, v209, v28                          // 0000000085FC: D20100B0 0473A31D
	v_mov_b32_e32 v30, v194                                    // 000000008604: 7E3C03C2
	v_mov_b32_e32 v31, v195                                    // 000000008608: 7E3E03C3
	v_cmp_u_f32_e64 s[74:75], v30, v30                         // 00000000860C: D048004A 00023D1E
	v_bfe_u32 v208, v30, 16, 1                                 // 000000008614: D1C800D0 0205211E
	v_add3_u32 v208, v30, v208, v211                           // 00000000861C: D1FF00D0 074FA11E
	v_cndmask_b32_e64 v28, v208, v210, s[74:75]                // 000000008624: D100001C 012BA5D0
	v_lshrrev_b32_e32 v28, 16, v28                             // 00000000862C: 20383890
	v_cmp_u_f32_e64 s[74:75], v31, v31                         // 000000008630: D048004A 00023F1F
	v_bfe_u32 v208, v31, 16, 1                                 // 000000008638: D1C800D0 0205211F
	v_add3_u32 v208, v31, v208, v211                           // 000000008640: D1FF00D0 074FA11F
	v_cndmask_b32_e64 v29, v208, v210, s[74:75]                // 000000008648: D100001D 012BA5D0
	v_and_or_b32 v177, v29, v209, v28                          // 000000008650: D20100B1 0473A31D
	v_mov_b32_e32 v30, v196                                    // 000000008658: 7E3C03C4
	v_mov_b32_e32 v31, v197                                    // 00000000865C: 7E3E03C5
	v_cmp_u_f32_e64 s[74:75], v30, v30                         // 000000008660: D048004A 00023D1E
	v_bfe_u32 v208, v30, 16, 1                                 // 000000008668: D1C800D0 0205211E
	v_add3_u32 v208, v30, v208, v211                           // 000000008670: D1FF00D0 074FA11E
	v_cndmask_b32_e64 v28, v208, v210, s[74:75]                // 000000008678: D100001C 012BA5D0
	v_lshrrev_b32_e32 v28, 16, v28                             // 000000008680: 20383890
	v_cmp_u_f32_e64 s[74:75], v31, v31                         // 000000008684: D048004A 00023F1F
	v_bfe_u32 v208, v31, 16, 1                                 // 00000000868C: D1C800D0 0205211F
	v_add3_u32 v208, v31, v208, v211                           // 000000008694: D1FF00D0 074FA11F
	v_cndmask_b32_e64 v29, v208, v210, s[74:75]                // 00000000869C: D100001D 012BA5D0
	v_and_or_b32 v178, v29, v209, v28                          // 0000000086A4: D20100B2 0473A31D
	v_mov_b32_e32 v30, v198                                    // 0000000086AC: 7E3C03C6
	v_mov_b32_e32 v31, v199                                    // 0000000086B0: 7E3E03C7
	v_cmp_u_f32_e64 s[74:75], v30, v30                         // 0000000086B4: D048004A 00023D1E
	v_bfe_u32 v208, v30, 16, 1                                 // 0000000086BC: D1C800D0 0205211E
	v_add3_u32 v208, v30, v208, v211                           // 0000000086C4: D1FF00D0 074FA11E
	v_cndmask_b32_e64 v28, v208, v210, s[74:75]                // 0000000086CC: D100001C 012BA5D0
	v_lshrrev_b32_e32 v28, 16, v28                             // 0000000086D4: 20383890
	v_cmp_u_f32_e64 s[74:75], v31, v31                         // 0000000086D8: D048004A 00023F1F
	v_bfe_u32 v208, v31, 16, 1                                 // 0000000086E0: D1C800D0 0205211F
	v_add3_u32 v208, v31, v208, v211                           // 0000000086E8: D1FF00D0 074FA11F
	v_cndmask_b32_e64 v29, v208, v210, s[74:75]                // 0000000086F0: D100001D 012BA5D0
	v_and_or_b32 v179, v29, v209, v28                          // 0000000086F8: D20100B3 0473A31D
	v_mov_b32_e32 v30, v200                                    // 000000008700: 7E3C03C8
	v_mov_b32_e32 v31, v201                                    // 000000008704: 7E3E03C9
	v_cmp_u_f32_e64 s[74:75], v30, v30                         // 000000008708: D048004A 00023D1E
	v_bfe_u32 v208, v30, 16, 1                                 // 000000008710: D1C800D0 0205211E
	v_add3_u32 v208, v30, v208, v211                           // 000000008718: D1FF00D0 074FA11E
	v_cndmask_b32_e64 v28, v208, v210, s[74:75]                // 000000008720: D100001C 012BA5D0
	v_lshrrev_b32_e32 v28, 16, v28                             // 000000008728: 20383890
	v_cmp_u_f32_e64 s[74:75], v31, v31                         // 00000000872C: D048004A 00023F1F
	v_bfe_u32 v208, v31, 16, 1                                 // 000000008734: D1C800D0 0205211F
	v_add3_u32 v208, v31, v208, v211                           // 00000000873C: D1FF00D0 074FA11F
	v_cndmask_b32_e64 v29, v208, v210, s[74:75]                // 000000008744: D100001D 012BA5D0
	v_and_or_b32 v180, v29, v209, v28                          // 00000000874C: D20100B4 0473A31D
	v_mov_b32_e32 v30, v202                                    // 000000008754: 7E3C03CA
	v_mov_b32_e32 v31, v203                                    // 000000008758: 7E3E03CB
	v_cmp_u_f32_e64 s[74:75], v30, v30                         // 00000000875C: D048004A 00023D1E
	v_bfe_u32 v208, v30, 16, 1                                 // 000000008764: D1C800D0 0205211E
	v_add3_u32 v208, v30, v208, v211                           // 00000000876C: D1FF00D0 074FA11E
	v_cndmask_b32_e64 v28, v208, v210, s[74:75]                // 000000008774: D100001C 012BA5D0
	v_lshrrev_b32_e32 v28, 16, v28                             // 00000000877C: 20383890
	v_cmp_u_f32_e64 s[74:75], v31, v31                         // 000000008780: D048004A 00023F1F
	v_bfe_u32 v208, v31, 16, 1                                 // 000000008788: D1C800D0 0205211F
	v_add3_u32 v208, v31, v208, v211                           // 000000008790: D1FF00D0 074FA11F
	v_cndmask_b32_e64 v29, v208, v210, s[74:75]                // 000000008798: D100001D 012BA5D0
	v_and_or_b32 v181, v29, v209, v28                          // 0000000087A0: D20100B5 0473A31D
	v_mov_b32_e32 v30, v204                                    // 0000000087A8: 7E3C03CC
	v_mov_b32_e32 v31, v205                                    // 0000000087AC: 7E3E03CD
	v_cmp_u_f32_e64 s[74:75], v30, v30                         // 0000000087B0: D048004A 00023D1E
	v_bfe_u32 v208, v30, 16, 1                                 // 0000000087B8: D1C800D0 0205211E
	v_add3_u32 v208, v30, v208, v211                           // 0000000087C0: D1FF00D0 074FA11E
	v_cndmask_b32_e64 v28, v208, v210, s[74:75]                // 0000000087C8: D100001C 012BA5D0
	v_lshrrev_b32_e32 v28, 16, v28                             // 0000000087D0: 20383890
	v_cmp_u_f32_e64 s[74:75], v31, v31                         // 0000000087D4: D048004A 00023F1F
	v_bfe_u32 v208, v31, 16, 1                                 // 0000000087DC: D1C800D0 0205211F
	v_add3_u32 v208, v31, v208, v211                           // 0000000087E4: D1FF00D0 074FA11F
	v_cndmask_b32_e64 v29, v208, v210, s[74:75]                // 0000000087EC: D100001D 012BA5D0
	v_and_or_b32 v182, v29, v209, v28                          // 0000000087F4: D20100B6 0473A31D
	v_mov_b32_e32 v30, v206                                    // 0000000087FC: 7E3C03CE
	v_mov_b32_e32 v31, v207                                    // 000000008800: 7E3E03CF
	v_cmp_u_f32_e64 s[74:75], v30, v30                         // 000000008804: D048004A 00023D1E
	v_bfe_u32 v208, v30, 16, 1                                 // 00000000880C: D1C800D0 0205211E
	v_add3_u32 v208, v30, v208, v211                           // 000000008814: D1FF00D0 074FA11E
	v_cndmask_b32_e64 v28, v208, v210, s[74:75]                // 00000000881C: D100001C 012BA5D0
	v_lshrrev_b32_e32 v28, 16, v28                             // 000000008824: 20383890
	v_cmp_u_f32_e64 s[74:75], v31, v31                         // 000000008828: D048004A 00023F1F
	v_bfe_u32 v208, v31, 16, 1                                 // 000000008830: D1C800D0 0205211F
	v_add3_u32 v208, v31, v208, v211                           // 000000008838: D1FF00D0 074FA11F
	v_cndmask_b32_e64 v29, v208, v210, s[74:75]                // 000000008840: D100001D 012BA5D0
	v_and_or_b32 v183, v29, v209, v28                          // 000000008848: D20100B7 0473A31D
	ds_write_b64 v25, v[160:161]                               // 000000008850: D89A0000 0000A019
	ds_write_b64 v25, v[162:163] offset:544                    // 000000008858: D89A0220 0000A219
	ds_write_b64 v25, v[164:165] offset:1088                   // 000000008860: D89A0440 0000A419
	ds_write_b64 v25, v[166:167] offset:1632                   // 000000008868: D89A0660 0000A619
	ds_write_b64 v25, v[168:169] offset:2176                   // 000000008870: D89A0880 0000A819
	ds_write_b64 v25, v[170:171] offset:2720                   // 000000008878: D89A0AA0 0000AA19
	ds_write_b64 v25, v[172:173] offset:3264                   // 000000008880: D89A0CC0 0000AC19
	ds_write_b64 v25, v[174:175] offset:3808                   // 000000008888: D89A0EE0 0000AE19
	ds_write_b64 v25, v[176:177] offset:4352                   // 000000008890: D89A1100 0000B019
	ds_write_b64 v25, v[178:179] offset:4896                   // 000000008898: D89A1320 0000B219
	ds_write_b64 v25, v[180:181] offset:5440                   // 0000000088A0: D89A1540 0000B419
	ds_write_b64 v25, v[182:183] offset:5984                   // 0000000088A8: D89A1760 0000B619
	s_waitcnt lgkmcnt(0)                                       // 0000000088B0: BF8CC07F
	s_barrier                                                  // 0000000088B4: BF8A0000
	ds_read_b64 v[160:161], v24                                // 0000000088B8: D8EC0000 A0000018
	ds_read_b64 v[162:163], v24 offset:128                     // 0000000088C0: D8EC0080 A2000018
	ds_read_b64 v[164:165], v24 offset:64                      // 0000000088C8: D8EC0040 A4000018
	ds_read_b64 v[166:167], v24 offset:192                     // 0000000088D0: D8EC00C0 A6000018
	ds_read_b64 v[168:169], v24 offset:2176                    // 0000000088D8: D8EC0880 A8000018
	ds_read_b64 v[170:171], v24 offset:2304                    // 0000000088E0: D8EC0900 AA000018
	ds_read_b64 v[172:173], v24 offset:2240                    // 0000000088E8: D8EC08C0 AC000018
	ds_read_b64 v[174:175], v24 offset:2368                    // 0000000088F0: D8EC0940 AE000018
	ds_read_b64 v[176:177], v24 offset:4352                    // 0000000088F8: D8EC1100 B0000018
	ds_read_b64 v[178:179], v24 offset:4480                    // 000000008900: D8EC1180 B2000018
	ds_read_b64 v[180:181], v24 offset:4416                    // 000000008908: D8EC1140 B4000018
	ds_read_b64 v[182:183], v24 offset:4544                    // 000000008910: D8EC11C0 B6000018
	s_waitcnt lgkmcnt(0)                                       // 000000008918: BF8CC07F
	buffer_store_dwordx4 v[160:163], v5, s[40:43], 0 idxen     // 00000000891C: E07C2000 800AA005
	v_add_u32_e32 v5, 32, v5                                   // 000000008924: 680A0AA0
	buffer_store_dwordx4 v[164:167], v6, s[40:43], 0 idxen     // 000000008928: E07C2000 800AA406
	v_add_u32_e32 v6, 32, v6                                   // 000000008930: 680C0CA0
	buffer_store_dwordx4 v[168:171], v5, s[40:43], 0 idxen     // 000000008934: E07C2000 800AA805
	v_add_u32_e32 v5, 32, v5                                   // 00000000893C: 680A0AA0
	buffer_store_dwordx4 v[172:175], v6, s[40:43], 0 idxen     // 000000008940: E07C2000 800AAC06
	v_add_u32_e32 v6, 32, v6                                   // 000000008948: 680C0CA0
	s_mov_b64 exec, s[90:91]                                   // 00000000894C: BEFE015A
	buffer_store_dwordx4 v[176:179], v5, s[40:43], 0 idxen     // 000000008950: E07C2000 800AB005
	s_mov_b64 exec, s[86:87]                                   // 000000008958: BEFE0156
	v_add_u32_e32 v5, 32, v5                                   // 00000000895C: 680A0AA0
	s_mov_b64 exec, s[90:91]                                   // 000000008960: BEFE015A
	buffer_store_dwordx4 v[180:183], v6, s[40:43], 0 idxen     // 000000008964: E07C2000 800AB406
	s_mov_b64 exec, s[86:87]                                   // 00000000896C: BEFE0156
	v_add_u32_e32 v6, 32, v6                                   // 000000008970: 680C0CA0
	s_waitcnt vmcnt(0) expcnt(0) lgkmcnt(0)                    // 000000008974: BF8C0000
	s_endpgm                                                   // 000000008978: BF810000
